;; amdgpu-corpus repo=ROCm/rocFFT kind=compiled arch=gfx906 opt=O3
	.text
	.amdgcn_target "amdgcn-amd-amdhsa--gfx906"
	.amdhsa_code_object_version 6
	.protected	bluestein_single_fwd_len1734_dim1_dp_op_CI_CI ; -- Begin function bluestein_single_fwd_len1734_dim1_dp_op_CI_CI
	.globl	bluestein_single_fwd_len1734_dim1_dp_op_CI_CI
	.p2align	8
	.type	bluestein_single_fwd_len1734_dim1_dp_op_CI_CI,@function
bluestein_single_fwd_len1734_dim1_dp_op_CI_CI: ; @bluestein_single_fwd_len1734_dim1_dp_op_CI_CI
; %bb.0:
	s_mov_b64 s[66:67], s[2:3]
	s_mov_b64 s[64:65], s[0:1]
	s_load_dwordx4 s[0:3], s[4:5], 0x28
	v_mul_u32_u24_e32 v1, 0x283, v0
	v_add_u32_sdwa v2, s6, v1 dst_sel:DWORD dst_unused:UNUSED_PAD src0_sel:DWORD src1_sel:WORD_1
	v_mov_b32_e32 v3, 0
	s_add_u32 s64, s64, s7
	s_waitcnt lgkmcnt(0)
	v_cmp_gt_u64_e32 vcc, s[0:1], v[2:3]
	s_addc_u32 s65, s65, 0
	s_and_saveexec_b64 s[0:1], vcc
	s_cbranch_execz .LBB0_10
; %bb.1:
	s_load_dwordx4 s[8:11], s[4:5], 0x0
	s_load_dwordx4 s[20:23], s[4:5], 0x18
	s_load_dwordx2 s[16:17], s[4:5], 0x38
	v_mov_b32_e32 v3, v2
	s_movk_i32 s0, 0x66
	v_mul_lo_u16_sdwa v1, v1, s0 dst_sel:DWORD dst_unused:UNUSED_PAD src0_sel:WORD_1 src1_sel:DWORD
	s_waitcnt lgkmcnt(0)
	s_load_dwordx4 s[4:7], s[22:23], 0x0
	s_load_dwordx4 s[12:15], s[20:21], 0x0
	buffer_store_dword v3, off, s[64:67], 0 offset:20 ; 4-byte Folded Spill
	s_nop 0
	buffer_store_dword v4, off, s[64:67], 0 offset:24 ; 4-byte Folded Spill
	v_sub_u16_e32 v60, v0, v1
	v_lshlrev_b32_e32 v8, 4, v60
	global_load_dwordx4 v[13:16], v8, s[8:9]
	s_waitcnt lgkmcnt(0)
	v_mad_u64_u32 v[0:1], s[0:1], s14, v2, 0
	s_movk_i32 s33, 0x3000
	s_mov_b32 s30, 0x5d8e7cdc
	v_mad_u64_u32 v[1:2], s[0:1], s15, v2, v[1:2]
	v_mad_u64_u32 v[2:3], s[0:1], s12, v60, 0
	v_lshlrev_b64 v[0:1], 4, v[0:1]
	s_mov_b32 s42, 0x2a9d6da3
	s_mov_b32 s48, 0x7c9e640b
	;; [unrolled: 1-line block ×41, first 2 shown]
	v_mul_lo_u16_e32 v9, 17, v60
	v_lshlrev_b32_e32 v9, 4, v9
	s_movk_i32 s60, 0xf1
	v_mad_u64_u32 v[3:4], s[0:1], s13, v60, v[3:4]
	v_add_co_u32_e32 v4, vcc, s2, v0
	v_mov_b32_e32 v0, s3
	v_addc_co_u32_e32 v6, vcc, v0, v1, vcc
	v_lshlrev_b64 v[0:1], 4, v[2:3]
	s_mul_hi_u32 s2, s12, 0x660
	v_add_co_u32_e32 v5, vcc, v4, v0
	v_addc_co_u32_e32 v6, vcc, v6, v1, vcc
	global_load_dwordx4 v[1:4], v[5:6], off
	v_add_co_u32_e32 v10, vcc, s8, v8
	v_mov_b32_e32 v0, s9
	v_addc_co_u32_e64 v0, s[0:1], 0, v0, vcc
	s_mul_i32 s0, s13, 0x660
	s_add_i32 s2, s2, s0
	s_mul_i32 s3, s12, 0x660
	v_add_co_u32_e64 v5, s[0:1], s3, v5
	s_mov_b32 s12, 0x75d4884
	s_mov_b32 s13, 0x3fe7a5f6
	s_waitcnt vmcnt(0)
	v_mul_f64 v[11:12], v[3:4], v[15:16]
	v_fma_f64 v[11:12], v[1:2], v[13:14], v[11:12]
	v_mul_f64 v[1:2], v[1:2], v[15:16]
	buffer_store_dword v13, off, s[64:67], 0 offset:60 ; 4-byte Folded Spill
	s_nop 0
	buffer_store_dword v14, off, s[64:67], 0 offset:64 ; 4-byte Folded Spill
	buffer_store_dword v15, off, s[64:67], 0 offset:68 ; 4-byte Folded Spill
	;; [unrolled: 1-line block ×3, first 2 shown]
	v_fma_f64 v[13:14], v[3:4], v[13:14], -v[1:2]
	v_mov_b32_e32 v1, s2
	v_addc_co_u32_e64 v6, s[0:1], v6, v1, s[0:1]
	ds_write_b128 v8, v[11:14]
	global_load_dwordx4 v[1:4], v[5:6], off
	global_load_dwordx4 v[13:16], v8, s[8:9] offset:1632
	v_add_co_u32_e64 v5, s[0:1], s3, v5
	s_waitcnt vmcnt(0)
	v_mul_f64 v[11:12], v[3:4], v[15:16]
	v_fma_f64 v[11:12], v[1:2], v[13:14], v[11:12]
	v_mul_f64 v[1:2], v[1:2], v[15:16]
	buffer_store_dword v13, off, s[64:67], 0 offset:44 ; 4-byte Folded Spill
	s_nop 0
	buffer_store_dword v14, off, s[64:67], 0 offset:48 ; 4-byte Folded Spill
	buffer_store_dword v15, off, s[64:67], 0 offset:52 ; 4-byte Folded Spill
	;; [unrolled: 1-line block ×3, first 2 shown]
	v_fma_f64 v[13:14], v[3:4], v[13:14], -v[1:2]
	v_mov_b32_e32 v1, s2
	v_addc_co_u32_e64 v6, s[0:1], v6, v1, s[0:1]
	ds_write_b128 v8, v[11:14] offset:1632
	global_load_dwordx4 v[1:4], v[5:6], off
	global_load_dwordx4 v[13:16], v8, s[8:9] offset:3264
	v_add_co_u32_e64 v5, s[0:1], s3, v5
	s_movk_i32 s8, 0x1000
	s_waitcnt vmcnt(0)
	v_mul_f64 v[11:12], v[3:4], v[15:16]
	v_fma_f64 v[11:12], v[1:2], v[13:14], v[11:12]
	v_mul_f64 v[1:2], v[1:2], v[15:16]
	buffer_store_dword v13, off, s[64:67], 0 offset:28 ; 4-byte Folded Spill
	s_nop 0
	buffer_store_dword v14, off, s[64:67], 0 offset:32 ; 4-byte Folded Spill
	buffer_store_dword v15, off, s[64:67], 0 offset:36 ; 4-byte Folded Spill
	;; [unrolled: 1-line block ×3, first 2 shown]
	v_fma_f64 v[13:14], v[3:4], v[13:14], -v[1:2]
	v_mov_b32_e32 v1, s2
	v_addc_co_u32_e64 v6, s[0:1], v6, v1, s[0:1]
	v_add_co_u32_e64 v15, s[0:1], s8, v10
	v_addc_co_u32_e64 v16, s[0:1], 0, v0, s[0:1]
	global_load_dwordx4 v[1:4], v[5:6], off
	global_load_dwordx4 v[17:20], v[15:16], off offset:800
	ds_write_b128 v8, v[11:14] offset:3264
	v_add_co_u32_e64 v5, s[0:1], s3, v5
	s_waitcnt vmcnt(0)
	v_mul_f64 v[11:12], v[3:4], v[19:20]
	v_fma_f64 v[11:12], v[1:2], v[17:18], v[11:12]
	v_mul_f64 v[1:2], v[1:2], v[19:20]
	buffer_store_dword v17, off, s[64:67], 0 offset:108 ; 4-byte Folded Spill
	s_nop 0
	buffer_store_dword v18, off, s[64:67], 0 offset:112 ; 4-byte Folded Spill
	buffer_store_dword v19, off, s[64:67], 0 offset:116 ; 4-byte Folded Spill
	buffer_store_dword v20, off, s[64:67], 0 offset:120 ; 4-byte Folded Spill
	v_fma_f64 v[13:14], v[3:4], v[17:18], -v[1:2]
	v_mov_b32_e32 v1, s2
	v_addc_co_u32_e64 v6, s[0:1], v6, v1, s[0:1]
	ds_write_b128 v8, v[11:14] offset:4896
	global_load_dwordx4 v[1:4], v[5:6], off
	global_load_dwordx4 v[17:20], v[15:16], off offset:2432
	v_add_co_u32_e64 v5, s[0:1], s3, v5
	s_waitcnt vmcnt(0)
	v_mul_f64 v[11:12], v[3:4], v[19:20]
	v_fma_f64 v[11:12], v[1:2], v[17:18], v[11:12]
	v_mul_f64 v[1:2], v[1:2], v[19:20]
	buffer_store_dword v17, off, s[64:67], 0 offset:92 ; 4-byte Folded Spill
	s_nop 0
	buffer_store_dword v18, off, s[64:67], 0 offset:96 ; 4-byte Folded Spill
	buffer_store_dword v19, off, s[64:67], 0 offset:100 ; 4-byte Folded Spill
	;; [unrolled: 1-line block ×3, first 2 shown]
	v_fma_f64 v[13:14], v[3:4], v[17:18], -v[1:2]
	v_mov_b32_e32 v1, s2
	v_addc_co_u32_e64 v6, s[0:1], v6, v1, s[0:1]
	ds_write_b128 v8, v[11:14] offset:6528
	global_load_dwordx4 v[1:4], v[5:6], off
	global_load_dwordx4 v[17:20], v[15:16], off offset:4064
	v_add_co_u32_e64 v5, s[0:1], s3, v5
	s_waitcnt vmcnt(0)
	v_mul_f64 v[11:12], v[3:4], v[19:20]
	v_fma_f64 v[24:25], v[1:2], v[17:18], v[11:12]
	v_mul_f64 v[1:2], v[1:2], v[19:20]
	buffer_store_dword v17, off, s[64:67], 0 offset:76 ; 4-byte Folded Spill
	s_nop 0
	buffer_store_dword v18, off, s[64:67], 0 offset:80 ; 4-byte Folded Spill
	buffer_store_dword v19, off, s[64:67], 0 offset:84 ; 4-byte Folded Spill
	buffer_store_dword v20, off, s[64:67], 0 offset:88 ; 4-byte Folded Spill
	v_fma_f64 v[26:27], v[3:4], v[17:18], -v[1:2]
	v_mov_b32_e32 v1, s2
	v_addc_co_u32_e64 v6, s[0:1], v6, v1, s[0:1]
	s_movk_i32 s0, 0x2000
	v_add_co_u32_e64 v11, s[0:1], s0, v10
	v_addc_co_u32_e64 v12, s[0:1], 0, v0, s[0:1]
	global_load_dwordx4 v[1:4], v[5:6], off
	global_load_dwordx4 v[15:18], v[11:12], off offset:1600
	ds_write_b128 v8, v[24:27] offset:8160
	v_add_co_u32_e64 v5, s[0:1], s3, v5
	s_waitcnt vmcnt(0)
	v_mul_f64 v[13:14], v[3:4], v[17:18]
	v_fma_f64 v[28:29], v[1:2], v[15:16], v[13:14]
	v_mul_f64 v[1:2], v[1:2], v[17:18]
	buffer_store_dword v15, off, s[64:67], 0 offset:124 ; 4-byte Folded Spill
	s_nop 0
	buffer_store_dword v16, off, s[64:67], 0 offset:128 ; 4-byte Folded Spill
	buffer_store_dword v17, off, s[64:67], 0 offset:132 ; 4-byte Folded Spill
	;; [unrolled: 1-line block ×3, first 2 shown]
	v_fma_f64 v[30:31], v[3:4], v[15:16], -v[1:2]
	v_mov_b32_e32 v1, s2
	v_addc_co_u32_e64 v6, s[0:1], v6, v1, s[0:1]
	ds_write_b128 v8, v[28:31] offset:9792
	global_load_dwordx4 v[1:4], v[5:6], off
	global_load_dwordx4 v[13:16], v[11:12], off offset:3232
	v_add_co_u32_e64 v5, s[0:1], s3, v5
	s_waitcnt vmcnt(0)
	v_mul_f64 v[11:12], v[3:4], v[15:16]
	v_fma_f64 v[32:33], v[1:2], v[13:14], v[11:12]
	v_mul_f64 v[1:2], v[1:2], v[15:16]
	buffer_store_dword v13, off, s[64:67], 0 offset:140 ; 4-byte Folded Spill
	s_nop 0
	buffer_store_dword v14, off, s[64:67], 0 offset:144 ; 4-byte Folded Spill
	buffer_store_dword v15, off, s[64:67], 0 offset:148 ; 4-byte Folded Spill
	;; [unrolled: 1-line block ×3, first 2 shown]
	v_fma_f64 v[34:35], v[3:4], v[13:14], -v[1:2]
	v_mov_b32_e32 v1, s2
	v_addc_co_u32_e64 v6, s[0:1], v6, v1, s[0:1]
	v_add_co_u32_e64 v11, s[0:1], s33, v10
	v_addc_co_u32_e64 v12, s[0:1], 0, v0, s[0:1]
	global_load_dwordx4 v[1:4], v[5:6], off
	global_load_dwordx4 v[15:18], v[11:12], off offset:768
	ds_write_b128 v8, v[32:35] offset:11424
	v_add_co_u32_e64 v5, s[0:1], s3, v5
	s_waitcnt vmcnt(0)
	v_mul_f64 v[13:14], v[3:4], v[17:18]
	v_fma_f64 v[36:37], v[1:2], v[15:16], v[13:14]
	v_mul_f64 v[1:2], v[1:2], v[17:18]
	buffer_store_dword v15, off, s[64:67], 0 offset:156 ; 4-byte Folded Spill
	s_nop 0
	buffer_store_dword v16, off, s[64:67], 0 offset:160 ; 4-byte Folded Spill
	buffer_store_dword v17, off, s[64:67], 0 offset:164 ; 4-byte Folded Spill
	;; [unrolled: 1-line block ×3, first 2 shown]
	v_fma_f64 v[38:39], v[3:4], v[15:16], -v[1:2]
	v_mov_b32_e32 v1, s2
	v_addc_co_u32_e64 v6, s[0:1], v6, v1, s[0:1]
	ds_write_b128 v8, v[36:39] offset:13056
	global_load_dwordx4 v[1:4], v[5:6], off
	global_load_dwordx4 v[15:18], v[11:12], off offset:2400
	v_add_co_u32_e64 v5, s[0:1], s3, v5
	s_waitcnt vmcnt(0)
	v_mul_f64 v[13:14], v[3:4], v[17:18]
	v_fma_f64 v[40:41], v[1:2], v[15:16], v[13:14]
	v_mul_f64 v[1:2], v[1:2], v[17:18]
	buffer_store_dword v15, off, s[64:67], 0 offset:172 ; 4-byte Folded Spill
	s_nop 0
	buffer_store_dword v16, off, s[64:67], 0 offset:176 ; 4-byte Folded Spill
	buffer_store_dword v17, off, s[64:67], 0 offset:180 ; 4-byte Folded Spill
	;; [unrolled: 1-line block ×3, first 2 shown]
	v_fma_f64 v[42:43], v[3:4], v[15:16], -v[1:2]
	v_mov_b32_e32 v1, s2
	v_addc_co_u32_e64 v6, s[0:1], v6, v1, s[0:1]
	ds_write_b128 v8, v[40:43] offset:14688
	global_load_dwordx4 v[1:4], v[5:6], off
	global_load_dwordx4 v[13:16], v[11:12], off offset:4032
	v_add_co_u32_e64 v5, s[0:1], s3, v5
	s_waitcnt vmcnt(0)
	v_mul_f64 v[11:12], v[3:4], v[15:16]
	v_fma_f64 v[44:45], v[1:2], v[13:14], v[11:12]
	v_mul_f64 v[1:2], v[1:2], v[15:16]
	buffer_store_dword v13, off, s[64:67], 0 offset:188 ; 4-byte Folded Spill
	s_nop 0
	buffer_store_dword v14, off, s[64:67], 0 offset:192 ; 4-byte Folded Spill
	buffer_store_dword v15, off, s[64:67], 0 offset:196 ; 4-byte Folded Spill
	;; [unrolled: 1-line block ×3, first 2 shown]
	v_fma_f64 v[46:47], v[3:4], v[13:14], -v[1:2]
	v_mov_b32_e32 v1, s2
	v_addc_co_u32_e64 v6, s[0:1], v6, v1, s[0:1]
	s_movk_i32 s0, 0x4000
	v_add_co_u32_e64 v11, s[0:1], s0, v10
	v_addc_co_u32_e64 v12, s[0:1], 0, v0, s[0:1]
	global_load_dwordx4 v[1:4], v[5:6], off
	global_load_dwordx4 v[15:18], v[11:12], off offset:1568
	ds_write_b128 v8, v[44:47] offset:16320
	v_add_co_u32_e64 v5, s[0:1], s3, v5
	s_waitcnt vmcnt(0)
	v_mul_f64 v[13:14], v[3:4], v[17:18]
	v_fma_f64 v[48:49], v[1:2], v[15:16], v[13:14]
	v_mul_f64 v[1:2], v[1:2], v[17:18]
	buffer_store_dword v15, off, s[64:67], 0 offset:204 ; 4-byte Folded Spill
	s_nop 0
	buffer_store_dword v16, off, s[64:67], 0 offset:208 ; 4-byte Folded Spill
	buffer_store_dword v17, off, s[64:67], 0 offset:212 ; 4-byte Folded Spill
	;; [unrolled: 1-line block ×3, first 2 shown]
	v_fma_f64 v[50:51], v[3:4], v[15:16], -v[1:2]
	v_mov_b32_e32 v1, s2
	v_addc_co_u32_e64 v6, s[0:1], v6, v1, s[0:1]
	ds_write_b128 v8, v[48:51] offset:17952
	global_load_dwordx4 v[1:4], v[5:6], off
	global_load_dwordx4 v[13:16], v[11:12], off offset:3200
	v_add_co_u32_e64 v5, s[0:1], s3, v5
	s_waitcnt vmcnt(0)
	v_mul_f64 v[11:12], v[3:4], v[15:16]
	v_fma_f64 v[52:53], v[1:2], v[13:14], v[11:12]
	v_mul_f64 v[1:2], v[1:2], v[15:16]
	buffer_store_dword v13, off, s[64:67], 0 offset:220 ; 4-byte Folded Spill
	s_nop 0
	buffer_store_dword v14, off, s[64:67], 0 offset:224 ; 4-byte Folded Spill
	buffer_store_dword v15, off, s[64:67], 0 offset:228 ; 4-byte Folded Spill
	;; [unrolled: 1-line block ×3, first 2 shown]
	v_fma_f64 v[54:55], v[3:4], v[13:14], -v[1:2]
	v_mov_b32_e32 v1, s2
	v_addc_co_u32_e64 v6, s[0:1], v6, v1, s[0:1]
	s_movk_i32 s0, 0x5000
	v_add_co_u32_e64 v11, s[0:1], s0, v10
	v_addc_co_u32_e64 v12, s[0:1], 0, v0, s[0:1]
	global_load_dwordx4 v[1:4], v[5:6], off
	global_load_dwordx4 v[15:18], v[11:12], off offset:736
	ds_write_b128 v8, v[52:55] offset:19584
	v_add_co_u32_e64 v5, s[0:1], s3, v5
	s_waitcnt vmcnt(0)
	v_mul_f64 v[13:14], v[3:4], v[17:18]
	v_fma_f64 v[56:57], v[1:2], v[15:16], v[13:14]
	v_mul_f64 v[1:2], v[1:2], v[17:18]
	buffer_store_dword v15, off, s[64:67], 0 offset:236 ; 4-byte Folded Spill
	s_nop 0
	buffer_store_dword v16, off, s[64:67], 0 offset:240 ; 4-byte Folded Spill
	buffer_store_dword v17, off, s[64:67], 0 offset:244 ; 4-byte Folded Spill
	;; [unrolled: 1-line block ×3, first 2 shown]
	v_fma_f64 v[58:59], v[3:4], v[15:16], -v[1:2]
	v_mov_b32_e32 v1, s2
	v_addc_co_u32_e64 v6, s[0:1], v6, v1, s[0:1]
	ds_write_b128 v8, v[56:59] offset:21216
	global_load_dwordx4 v[1:4], v[5:6], off
	global_load_dwordx4 v[15:18], v[11:12], off offset:2368
	v_add_co_u32_e64 v5, s[0:1], s3, v5
	s_waitcnt vmcnt(0)
	v_mul_f64 v[13:14], v[3:4], v[17:18]
	v_fma_f64 v[56:57], v[1:2], v[15:16], v[13:14]
	v_mul_f64 v[1:2], v[1:2], v[17:18]
	buffer_store_dword v15, off, s[64:67], 0 offset:268 ; 4-byte Folded Spill
	s_nop 0
	buffer_store_dword v16, off, s[64:67], 0 offset:272 ; 4-byte Folded Spill
	buffer_store_dword v17, off, s[64:67], 0 offset:276 ; 4-byte Folded Spill
	;; [unrolled: 1-line block ×3, first 2 shown]
	v_fma_f64 v[58:59], v[3:4], v[15:16], -v[1:2]
	v_mov_b32_e32 v1, s2
	v_addc_co_u32_e64 v6, s[0:1], v6, v1, s[0:1]
	ds_write_b128 v8, v[56:59] offset:22848
	global_load_dwordx4 v[1:4], v[5:6], off
	global_load_dwordx4 v[13:16], v[11:12], off offset:4000
	s_waitcnt vmcnt(0)
	v_mul_f64 v[11:12], v[3:4], v[15:16]
	v_fma_f64 v[64:65], v[1:2], v[13:14], v[11:12]
	v_mul_f64 v[1:2], v[1:2], v[15:16]
	buffer_store_dword v13, off, s[64:67], 0 offset:252 ; 4-byte Folded Spill
	s_nop 0
	buffer_store_dword v14, off, s[64:67], 0 offset:256 ; 4-byte Folded Spill
	buffer_store_dword v15, off, s[64:67], 0 offset:260 ; 4-byte Folded Spill
	;; [unrolled: 1-line block ×3, first 2 shown]
	v_fma_f64 v[66:67], v[3:4], v[13:14], -v[1:2]
	v_add_co_u32_e64 v1, s[0:1], s3, v5
	v_mov_b32_e32 v2, s2
	v_addc_co_u32_e64 v2, s[0:1], v6, v2, s[0:1]
	s_movk_i32 s0, 0x6000
	v_add_co_u32_e64 v5, s[0:1], s0, v10
	v_addc_co_u32_e64 v6, s[0:1], 0, v0, s[0:1]
	global_load_dwordx4 v[1:4], v[1:2], off
	ds_write_b128 v8, v[64:67] offset:24480
	global_load_dwordx4 v[11:14], v[5:6], off offset:1536
	s_mov_b32 s2, 0x2b2883cd
	s_mov_b32 s0, 0x3259b75e
	;; [unrolled: 1-line block ×4, first 2 shown]
	s_waitcnt vmcnt(0)
	v_mul_f64 v[5:6], v[3:4], v[13:14]
	v_fma_f64 v[68:69], v[1:2], v[11:12], v[5:6]
	v_mul_f64 v[0:1], v[1:2], v[13:14]
	buffer_store_dword v11, off, s[64:67], 0 offset:284 ; 4-byte Folded Spill
	s_nop 0
	buffer_store_dword v12, off, s[64:67], 0 offset:288 ; 4-byte Folded Spill
	buffer_store_dword v13, off, s[64:67], 0 offset:292 ; 4-byte Folded Spill
	;; [unrolled: 1-line block ×3, first 2 shown]
	v_fma_f64 v[70:71], v[3:4], v[11:12], -v[0:1]
	ds_write_b128 v8, v[68:71] offset:26112
	s_waitcnt vmcnt(0) lgkmcnt(0)
	s_barrier
	ds_read_b128 v[0:3], v8
	ds_read_b128 v[4:7], v8 offset:1632
	ds_read_b128 v[120:123], v8 offset:3264
	;; [unrolled: 1-line block ×16, first 2 shown]
	s_waitcnt lgkmcnt(14)
	v_add_f64 v[11:12], v[0:1], v[4:5]
	v_add_f64 v[13:14], v[2:3], v[6:7]
	s_waitcnt lgkmcnt(0)
	s_barrier
	v_add_f64 v[11:12], v[11:12], v[120:121]
	v_add_f64 v[13:14], v[13:14], v[122:123]
	;; [unrolled: 1-line block ×30, first 2 shown]
	v_add_f64 v[4:5], v[4:5], -v[128:129]
	v_add_f64 v[70:71], v[13:14], v[130:131]
	v_add_f64 v[13:14], v[6:7], v[130:131]
	v_add_f64 v[6:7], v[6:7], -v[130:131]
	v_mul_f64 v[19:20], v[4:5], s[30:31]
	v_mul_f64 v[27:28], v[4:5], s[42:43]
	;; [unrolled: 1-line block ×9, first 2 shown]
	v_fma_f64 v[21:22], v[13:14], s[20:21], v[19:20]
	v_fma_f64 v[19:20], v[13:14], s[20:21], -v[19:20]
	v_mul_f64 v[23:24], v[6:7], s[42:43]
	v_fma_f64 v[29:30], v[13:14], s[12:13], v[27:28]
	v_fma_f64 v[27:28], v[13:14], s[12:13], -v[27:28]
	v_mul_f64 v[31:32], v[6:7], s[48:49]
	;; [unrolled: 3-line block ×7, first 2 shown]
	v_fma_f64 v[158:159], v[13:14], s[34:35], v[4:5]
	v_fma_f64 v[4:5], v[13:14], s[34:35], -v[4:5]
	v_add_f64 v[13:14], v[122:123], -v[126:127]
	v_fma_f64 v[17:18], v[11:12], s[20:21], -v[15:16]
	v_add_f64 v[21:22], v[2:3], v[21:22]
	v_fma_f64 v[15:16], v[11:12], s[20:21], v[15:16]
	v_add_f64 v[19:20], v[2:3], v[19:20]
	v_fma_f64 v[25:26], v[11:12], s[12:13], -v[23:24]
	v_add_f64 v[29:30], v[2:3], v[29:30]
	v_fma_f64 v[23:24], v[11:12], s[12:13], v[23:24]
	v_add_f64 v[27:28], v[2:3], v[27:28]
	;; [unrolled: 4-line block ×8, first 2 shown]
	v_add_f64 v[4:5], v[120:121], v[124:125]
	v_add_f64 v[11:12], v[120:121], -v[124:125]
	v_mul_f64 v[120:121], v[13:14], s[42:43]
	v_add_f64 v[17:18], v[0:1], v[17:18]
	v_add_f64 v[15:16], v[0:1], v[15:16]
	;; [unrolled: 1-line block ×17, first 2 shown]
	v_fma_f64 v[122:123], v[4:5], s[12:13], -v[120:121]
	v_fma_f64 v[120:121], v[4:5], s[12:13], v[120:121]
	v_add_f64 v[17:18], v[122:123], v[17:18]
	v_mul_f64 v[122:123], v[11:12], s[42:43]
	v_add_f64 v[15:16], v[120:121], v[15:16]
	v_fma_f64 v[120:121], v[6:7], s[12:13], -v[122:123]
	v_fma_f64 v[124:125], v[6:7], s[12:13], v[122:123]
	v_add_f64 v[19:20], v[120:121], v[19:20]
	v_mul_f64 v[120:121], v[13:14], s[40:41]
	v_add_f64 v[21:22], v[124:125], v[21:22]
	v_fma_f64 v[122:123], v[4:5], s[0:1], -v[120:121]
	v_fma_f64 v[120:121], v[4:5], s[0:1], v[120:121]
	v_add_f64 v[25:26], v[122:123], v[25:26]
	v_mul_f64 v[122:123], v[11:12], s[40:41]
	v_add_f64 v[23:24], v[120:121], v[23:24]
	v_fma_f64 v[120:121], v[6:7], s[0:1], -v[122:123]
	v_fma_f64 v[124:125], v[6:7], s[0:1], v[122:123]
	v_add_f64 v[27:28], v[120:121], v[27:28]
	v_mul_f64 v[120:121], v[13:14], s[24:25]
	v_add_f64 v[29:30], v[124:125], v[29:30]
	v_fma_f64 v[122:123], v[4:5], s[22:23], -v[120:121]
	v_fma_f64 v[120:121], v[4:5], s[22:23], v[120:121]
	v_add_f64 v[33:34], v[122:123], v[33:34]
	v_mul_f64 v[122:123], v[11:12], s[24:25]
	v_add_f64 v[31:32], v[120:121], v[31:32]
	v_fma_f64 v[120:121], v[6:7], s[22:23], -v[122:123]
	v_fma_f64 v[124:125], v[6:7], s[22:23], v[122:123]
	v_add_f64 v[35:36], v[120:121], v[35:36]
	v_mul_f64 v[120:121], v[13:14], s[36:37]
	v_add_f64 v[37:38], v[124:125], v[37:38]
	v_fma_f64 v[122:123], v[4:5], s[34:35], -v[120:121]
	v_fma_f64 v[120:121], v[4:5], s[34:35], v[120:121]
	v_add_f64 v[41:42], v[122:123], v[41:42]
	v_mul_f64 v[122:123], v[11:12], s[36:37]
	v_add_f64 v[39:40], v[120:121], v[39:40]
	v_fma_f64 v[124:125], v[6:7], s[34:35], v[122:123]
	v_fma_f64 v[120:121], v[6:7], s[34:35], -v[122:123]
	v_mul_f64 v[122:123], v[13:14], s[54:55]
	v_add_f64 v[124:125], v[124:125], v[130:131]
	v_add_f64 v[120:121], v[120:121], v[128:129]
	v_fma_f64 v[126:127], v[4:5], s[28:29], -v[122:123]
	v_fma_f64 v[122:123], v[4:5], s[28:29], v[122:123]
	v_mul_f64 v[128:129], v[11:12], s[54:55]
	v_add_f64 v[126:127], v[126:127], v[134:135]
	v_add_f64 v[122:123], v[122:123], v[132:133]
	v_mul_f64 v[132:133], v[13:14], s[50:51]
	v_fma_f64 v[130:131], v[6:7], s[28:29], v[128:129]
	v_fma_f64 v[128:129], v[6:7], s[28:29], -v[128:129]
	v_fma_f64 v[134:135], v[4:5], s[18:19], -v[132:133]
	v_fma_f64 v[132:133], v[4:5], s[18:19], v[132:133]
	v_add_f64 v[128:129], v[128:129], v[136:137]
	v_mul_f64 v[136:137], v[11:12], s[50:51]
	v_add_f64 v[130:131], v[130:131], v[138:139]
	v_add_f64 v[134:135], v[134:135], v[142:143]
	;; [unrolled: 1-line block ×3, first 2 shown]
	v_mul_f64 v[140:141], v[13:14], s[38:39]
	v_fma_f64 v[138:139], v[6:7], s[18:19], v[136:137]
	v_fma_f64 v[136:137], v[6:7], s[18:19], -v[136:137]
	v_mul_f64 v[13:14], v[13:14], s[44:45]
	v_fma_f64 v[142:143], v[4:5], s[2:3], -v[140:141]
	v_fma_f64 v[140:141], v[4:5], s[2:3], v[140:141]
	v_add_f64 v[136:137], v[136:137], v[144:145]
	v_mul_f64 v[144:145], v[11:12], s[38:39]
	v_mul_f64 v[11:12], v[11:12], s[44:45]
	v_add_f64 v[138:139], v[138:139], v[146:147]
	v_add_f64 v[142:143], v[142:143], v[150:151]
	;; [unrolled: 1-line block ×3, first 2 shown]
	v_fma_f64 v[148:149], v[4:5], s[20:21], -v[13:14]
	v_fma_f64 v[4:5], v[4:5], s[20:21], v[13:14]
	v_add_f64 v[13:14], v[114:115], -v[118:119]
	v_fma_f64 v[150:151], v[6:7], s[20:21], v[11:12]
	v_fma_f64 v[146:147], v[6:7], s[2:3], v[144:145]
	v_fma_f64 v[144:145], v[6:7], s[2:3], -v[144:145]
	v_add_f64 v[148:149], v[148:149], v[156:157]
	v_add_f64 v[0:1], v[4:5], v[0:1]
	v_fma_f64 v[4:5], v[6:7], s[20:21], -v[11:12]
	v_add_f64 v[11:12], v[112:113], -v[116:117]
	v_add_f64 v[6:7], v[114:115], v[118:119]
	v_add_f64 v[144:145], v[144:145], v[152:153]
	;; [unrolled: 1-line block ×6, first 2 shown]
	v_mul_f64 v[112:113], v[13:14], s[48:49]
	v_fma_f64 v[114:115], v[4:5], s[2:3], -v[112:113]
	v_fma_f64 v[112:113], v[4:5], s[2:3], v[112:113]
	v_add_f64 v[17:18], v[114:115], v[17:18]
	v_mul_f64 v[114:115], v[11:12], s[48:49]
	v_add_f64 v[15:16], v[112:113], v[15:16]
	v_fma_f64 v[112:113], v[6:7], s[2:3], -v[114:115]
	v_fma_f64 v[116:117], v[6:7], s[2:3], v[114:115]
	v_add_f64 v[19:20], v[112:113], v[19:20]
	v_mul_f64 v[112:113], v[13:14], s[24:25]
	v_add_f64 v[21:22], v[116:117], v[21:22]
	;; [unrolled: 5-line block ×7, first 2 shown]
	v_fma_f64 v[116:117], v[6:7], s[18:19], v[114:115]
	v_fma_f64 v[112:113], v[6:7], s[18:19], -v[114:115]
	v_mul_f64 v[114:115], v[13:14], s[46:47]
	v_add_f64 v[116:117], v[116:117], v[124:125]
	v_add_f64 v[112:113], v[112:113], v[120:121]
	v_fma_f64 v[118:119], v[4:5], s[12:13], -v[114:115]
	v_fma_f64 v[114:115], v[4:5], s[12:13], v[114:115]
	v_mul_f64 v[120:121], v[11:12], s[46:47]
	v_add_f64 v[118:119], v[118:119], v[126:127]
	v_add_f64 v[114:115], v[114:115], v[122:123]
	v_mul_f64 v[122:123], v[13:14], s[30:31]
	v_fma_f64 v[124:125], v[6:7], s[12:13], v[120:121]
	v_fma_f64 v[120:121], v[6:7], s[12:13], -v[120:121]
	v_fma_f64 v[126:127], v[4:5], s[20:21], -v[122:123]
	v_fma_f64 v[122:123], v[4:5], s[20:21], v[122:123]
	v_add_f64 v[120:121], v[120:121], v[128:129]
	v_mul_f64 v[128:129], v[11:12], s[30:31]
	v_add_f64 v[124:125], v[124:125], v[130:131]
	v_add_f64 v[126:127], v[126:127], v[134:135]
	;; [unrolled: 1-line block ×3, first 2 shown]
	v_mul_f64 v[132:133], v[13:14], s[40:41]
	v_fma_f64 v[130:131], v[6:7], s[20:21], v[128:129]
	v_fma_f64 v[128:129], v[6:7], s[20:21], -v[128:129]
	v_mul_f64 v[13:14], v[13:14], s[26:27]
	v_fma_f64 v[134:135], v[4:5], s[0:1], -v[132:133]
	v_fma_f64 v[132:133], v[4:5], s[0:1], v[132:133]
	v_add_f64 v[128:129], v[128:129], v[136:137]
	v_mul_f64 v[136:137], v[11:12], s[40:41]
	v_mul_f64 v[11:12], v[11:12], s[26:27]
	v_add_f64 v[130:131], v[130:131], v[138:139]
	v_add_f64 v[134:135], v[134:135], v[142:143]
	;; [unrolled: 1-line block ×3, first 2 shown]
	v_fma_f64 v[140:141], v[4:5], s[28:29], -v[13:14]
	v_fma_f64 v[4:5], v[4:5], s[28:29], v[13:14]
	v_add_f64 v[13:14], v[106:107], -v[110:111]
	v_fma_f64 v[142:143], v[6:7], s[28:29], v[11:12]
	v_fma_f64 v[138:139], v[6:7], s[0:1], v[136:137]
	v_fma_f64 v[136:137], v[6:7], s[0:1], -v[136:137]
	v_add_f64 v[140:141], v[140:141], v[148:149]
	v_add_f64 v[0:1], v[4:5], v[0:1]
	v_fma_f64 v[4:5], v[6:7], s[28:29], -v[11:12]
	v_add_f64 v[11:12], v[104:105], -v[108:109]
	v_add_f64 v[6:7], v[106:107], v[110:111]
	v_add_f64 v[136:137], v[136:137], v[144:145]
	;; [unrolled: 1-line block ×4, first 2 shown]
	v_add_f64 v[150:151], v[74:75], -v[78:79]
	v_add_f64 v[144:145], v[72:73], v[76:77]
	v_add_f64 v[2:3], v[4:5], v[2:3]
	;; [unrolled: 1-line block ×3, first 2 shown]
	v_mul_f64 v[104:105], v[13:14], s[40:41]
	v_add_f64 v[148:149], v[72:73], -v[76:77]
	v_add_f64 v[146:147], v[74:75], v[78:79]
	v_fma_f64 v[106:107], v[4:5], s[0:1], -v[104:105]
	v_fma_f64 v[104:105], v[4:5], s[0:1], v[104:105]
	v_add_f64 v[17:18], v[106:107], v[17:18]
	v_mul_f64 v[106:107], v[11:12], s[40:41]
	v_add_f64 v[15:16], v[104:105], v[15:16]
	v_fma_f64 v[104:105], v[6:7], s[0:1], -v[106:107]
	v_fma_f64 v[108:109], v[6:7], s[0:1], v[106:107]
	v_add_f64 v[19:20], v[104:105], v[19:20]
	v_mul_f64 v[104:105], v[13:14], s[36:37]
	;; [unrolled: 5-line block ×7, first 2 shown]
	v_add_f64 v[39:40], v[104:105], v[39:40]
	v_fma_f64 v[108:109], v[6:7], s[20:21], v[106:107]
	v_fma_f64 v[104:105], v[6:7], s[20:21], -v[106:107]
	v_mul_f64 v[106:107], v[13:14], s[48:49]
	v_add_f64 v[108:109], v[108:109], v[116:117]
	v_add_f64 v[104:105], v[104:105], v[112:113]
	v_fma_f64 v[110:111], v[4:5], s[2:3], -v[106:107]
	v_fma_f64 v[106:107], v[4:5], s[2:3], v[106:107]
	v_mul_f64 v[112:113], v[11:12], s[48:49]
	v_add_f64 v[110:111], v[110:111], v[118:119]
	v_add_f64 v[106:107], v[106:107], v[114:115]
	v_mul_f64 v[114:115], v[13:14], s[26:27]
	v_fma_f64 v[116:117], v[6:7], s[2:3], v[112:113]
	v_fma_f64 v[112:113], v[6:7], s[2:3], -v[112:113]
	v_fma_f64 v[118:119], v[4:5], s[28:29], -v[114:115]
	v_fma_f64 v[114:115], v[4:5], s[28:29], v[114:115]
	v_add_f64 v[112:113], v[112:113], v[120:121]
	v_mul_f64 v[120:121], v[11:12], s[26:27]
	v_add_f64 v[116:117], v[116:117], v[124:125]
	v_add_f64 v[118:119], v[118:119], v[126:127]
	;; [unrolled: 1-line block ×3, first 2 shown]
	v_mul_f64 v[122:123], v[13:14], s[56:57]
	v_fma_f64 v[124:125], v[6:7], s[28:29], v[120:121]
	v_fma_f64 v[120:121], v[6:7], s[28:29], -v[120:121]
	v_mul_f64 v[13:14], v[13:14], s[46:47]
	v_fma_f64 v[126:127], v[4:5], s[22:23], -v[122:123]
	v_fma_f64 v[122:123], v[4:5], s[22:23], v[122:123]
	v_add_f64 v[120:121], v[120:121], v[128:129]
	v_mul_f64 v[128:129], v[11:12], s[56:57]
	v_mul_f64 v[11:12], v[11:12], s[46:47]
	v_add_f64 v[124:125], v[124:125], v[130:131]
	v_add_f64 v[126:127], v[126:127], v[134:135]
	;; [unrolled: 1-line block ×3, first 2 shown]
	v_fma_f64 v[132:133], v[4:5], s[12:13], -v[13:14]
	v_fma_f64 v[4:5], v[4:5], s[12:13], v[13:14]
	v_add_f64 v[13:14], v[98:99], -v[102:103]
	v_fma_f64 v[134:135], v[6:7], s[12:13], v[11:12]
	v_fma_f64 v[130:131], v[6:7], s[22:23], v[128:129]
	v_fma_f64 v[128:129], v[6:7], s[22:23], -v[128:129]
	v_add_f64 v[132:133], v[132:133], v[140:141]
	v_add_f64 v[0:1], v[4:5], v[0:1]
	v_fma_f64 v[4:5], v[6:7], s[12:13], -v[11:12]
	v_add_f64 v[11:12], v[96:97], -v[100:101]
	v_add_f64 v[6:7], v[98:99], v[102:103]
	v_add_f64 v[128:129], v[128:129], v[136:137]
	;; [unrolled: 1-line block ×6, first 2 shown]
	v_mul_f64 v[96:97], v[13:14], s[14:15]
	v_fma_f64 v[98:99], v[4:5], s[18:19], -v[96:97]
	v_fma_f64 v[96:97], v[4:5], s[18:19], v[96:97]
	v_add_f64 v[17:18], v[98:99], v[17:18]
	v_mul_f64 v[98:99], v[11:12], s[14:15]
	v_add_f64 v[15:16], v[96:97], v[15:16]
	v_fma_f64 v[96:97], v[6:7], s[18:19], -v[98:99]
	v_fma_f64 v[100:101], v[6:7], s[18:19], v[98:99]
	v_add_f64 v[19:20], v[96:97], v[19:20]
	v_mul_f64 v[96:97], v[13:14], s[54:55]
	v_add_f64 v[21:22], v[100:101], v[21:22]
	;; [unrolled: 5-line block ×7, first 2 shown]
	v_fma_f64 v[100:101], v[6:7], s[2:3], v[98:99]
	v_fma_f64 v[96:97], v[6:7], s[2:3], -v[98:99]
	v_mul_f64 v[98:99], v[13:14], s[36:37]
	v_add_f64 v[100:101], v[100:101], v[108:109]
	v_add_f64 v[96:97], v[96:97], v[104:105]
	v_fma_f64 v[102:103], v[4:5], s[34:35], -v[98:99]
	v_fma_f64 v[98:99], v[4:5], s[34:35], v[98:99]
	v_mul_f64 v[104:105], v[11:12], s[36:37]
	v_add_f64 v[102:103], v[102:103], v[110:111]
	v_add_f64 v[98:99], v[98:99], v[106:107]
	v_mul_f64 v[106:107], v[13:14], s[52:53]
	v_fma_f64 v[108:109], v[6:7], s[34:35], v[104:105]
	v_fma_f64 v[104:105], v[6:7], s[34:35], -v[104:105]
	v_fma_f64 v[110:111], v[4:5], s[0:1], -v[106:107]
	v_fma_f64 v[106:107], v[4:5], s[0:1], v[106:107]
	v_add_f64 v[104:105], v[104:105], v[112:113]
	v_mul_f64 v[112:113], v[11:12], s[52:53]
	v_add_f64 v[108:109], v[108:109], v[116:117]
	v_add_f64 v[110:111], v[110:111], v[118:119]
	;; [unrolled: 1-line block ×3, first 2 shown]
	v_mul_f64 v[114:115], v[13:14], s[30:31]
	v_fma_f64 v[116:117], v[6:7], s[0:1], v[112:113]
	v_fma_f64 v[112:113], v[6:7], s[0:1], -v[112:113]
	v_mul_f64 v[13:14], v[13:14], s[24:25]
	v_fma_f64 v[118:119], v[4:5], s[20:21], -v[114:115]
	v_fma_f64 v[114:115], v[4:5], s[20:21], v[114:115]
	v_add_f64 v[112:113], v[112:113], v[120:121]
	v_mul_f64 v[120:121], v[11:12], s[30:31]
	v_mul_f64 v[11:12], v[11:12], s[24:25]
	v_add_f64 v[116:117], v[116:117], v[124:125]
	v_add_f64 v[118:119], v[118:119], v[126:127]
	;; [unrolled: 1-line block ×3, first 2 shown]
	v_fma_f64 v[122:123], v[4:5], s[22:23], -v[13:14]
	v_fma_f64 v[4:5], v[4:5], s[22:23], v[13:14]
	v_add_f64 v[13:14], v[90:91], -v[94:95]
	v_fma_f64 v[126:127], v[6:7], s[22:23], v[11:12]
	v_fma_f64 v[124:125], v[6:7], s[20:21], v[120:121]
	v_fma_f64 v[120:121], v[6:7], s[20:21], -v[120:121]
	v_add_f64 v[122:123], v[122:123], v[132:133]
	v_add_f64 v[0:1], v[4:5], v[0:1]
	v_fma_f64 v[4:5], v[6:7], s[22:23], -v[11:12]
	v_add_f64 v[11:12], v[88:89], -v[92:93]
	v_add_f64 v[6:7], v[90:91], v[94:95]
	v_add_f64 v[120:121], v[120:121], v[128:129]
	;; [unrolled: 1-line block ×6, first 2 shown]
	v_mul_f64 v[88:89], v[13:14], s[24:25]
	v_fma_f64 v[90:91], v[4:5], s[22:23], -v[88:89]
	v_fma_f64 v[88:89], v[4:5], s[22:23], v[88:89]
	v_add_f64 v[17:18], v[90:91], v[17:18]
	v_mul_f64 v[90:91], v[11:12], s[24:25]
	v_add_f64 v[15:16], v[88:89], v[15:16]
	v_fma_f64 v[88:89], v[6:7], s[22:23], -v[90:91]
	v_fma_f64 v[92:93], v[6:7], s[22:23], v[90:91]
	v_add_f64 v[19:20], v[88:89], v[19:20]
	v_mul_f64 v[88:89], v[13:14], s[50:51]
	v_add_f64 v[21:22], v[92:93], v[21:22]
	;; [unrolled: 5-line block ×7, first 2 shown]
	v_fma_f64 v[92:93], v[6:7], s[28:29], v[90:91]
	v_fma_f64 v[88:89], v[6:7], s[28:29], -v[90:91]
	v_mul_f64 v[90:91], v[13:14], s[52:53]
	v_add_f64 v[92:93], v[92:93], v[100:101]
	v_add_f64 v[88:89], v[88:89], v[96:97]
	v_fma_f64 v[94:95], v[4:5], s[0:1], -v[90:91]
	v_fma_f64 v[90:91], v[4:5], s[0:1], v[90:91]
	v_mul_f64 v[96:97], v[11:12], s[52:53]
	v_add_f64 v[94:95], v[94:95], v[102:103]
	v_add_f64 v[90:91], v[90:91], v[98:99]
	v_mul_f64 v[98:99], v[13:14], s[42:43]
	v_fma_f64 v[100:101], v[6:7], s[0:1], v[96:97]
	v_fma_f64 v[96:97], v[6:7], s[0:1], -v[96:97]
	v_fma_f64 v[102:103], v[4:5], s[12:13], -v[98:99]
	v_fma_f64 v[98:99], v[4:5], s[12:13], v[98:99]
	v_add_f64 v[96:97], v[96:97], v[104:105]
	v_mul_f64 v[104:105], v[11:12], s[42:43]
	v_add_f64 v[100:101], v[100:101], v[108:109]
	v_add_f64 v[102:103], v[102:103], v[110:111]
	;; [unrolled: 1-line block ×3, first 2 shown]
	v_mul_f64 v[106:107], v[13:14], s[36:37]
	v_fma_f64 v[108:109], v[6:7], s[12:13], v[104:105]
	v_fma_f64 v[104:105], v[6:7], s[12:13], -v[104:105]
	v_mul_f64 v[13:14], v[13:14], s[38:39]
	v_fma_f64 v[110:111], v[4:5], s[34:35], -v[106:107]
	v_fma_f64 v[106:107], v[4:5], s[34:35], v[106:107]
	v_add_f64 v[104:105], v[104:105], v[112:113]
	v_mul_f64 v[112:113], v[11:12], s[36:37]
	v_mul_f64 v[11:12], v[11:12], s[38:39]
	v_add_f64 v[108:109], v[108:109], v[116:117]
	v_add_f64 v[110:111], v[110:111], v[118:119]
	;; [unrolled: 1-line block ×3, first 2 shown]
	v_fma_f64 v[114:115], v[4:5], s[2:3], -v[13:14]
	v_fma_f64 v[4:5], v[4:5], s[2:3], v[13:14]
	v_add_f64 v[13:14], v[82:83], -v[86:87]
	v_fma_f64 v[118:119], v[6:7], s[2:3], v[11:12]
	v_fma_f64 v[116:117], v[6:7], s[34:35], v[112:113]
	v_fma_f64 v[112:113], v[6:7], s[34:35], -v[112:113]
	v_add_f64 v[114:115], v[114:115], v[122:123]
	v_add_f64 v[0:1], v[4:5], v[0:1]
	v_fma_f64 v[4:5], v[6:7], s[2:3], -v[11:12]
	v_add_f64 v[11:12], v[80:81], -v[84:85]
	v_add_f64 v[6:7], v[82:83], v[86:87]
	v_add_f64 v[112:113], v[112:113], v[120:121]
	;; [unrolled: 1-line block ×6, first 2 shown]
	v_mul_f64 v[80:81], v[13:14], s[26:27]
	v_fma_f64 v[82:83], v[4:5], s[28:29], -v[80:81]
	v_fma_f64 v[80:81], v[4:5], s[28:29], v[80:81]
	v_add_f64 v[17:18], v[82:83], v[17:18]
	v_mul_f64 v[82:83], v[11:12], s[26:27]
	v_add_f64 v[15:16], v[80:81], v[15:16]
	v_fma_f64 v[80:81], v[6:7], s[28:29], -v[82:83]
	v_fma_f64 v[84:85], v[6:7], s[28:29], v[82:83]
	v_add_f64 v[19:20], v[80:81], v[19:20]
	v_mul_f64 v[80:81], v[13:14], s[38:39]
	v_add_f64 v[21:22], v[84:85], v[21:22]
	;; [unrolled: 5-line block ×11, first 2 shown]
	v_fma_f64 v[80:81], v[6:7], s[34:35], -v[82:83]
	v_fma_f64 v[84:85], v[6:7], s[34:35], v[82:83]
	v_add_f64 v[132:133], v[80:81], v[104:105]
	v_mul_f64 v[80:81], v[13:14], s[46:47]
	v_mul_f64 v[13:14], v[13:14], s[14:15]
	v_add_f64 v[108:109], v[84:85], v[108:109]
	v_fma_f64 v[82:83], v[4:5], s[12:13], -v[80:81]
	v_fma_f64 v[80:81], v[4:5], s[12:13], v[80:81]
	v_add_f64 v[134:135], v[82:83], v[110:111]
	v_mul_f64 v[82:83], v[11:12], s[46:47]
	v_add_f64 v[136:137], v[80:81], v[106:107]
	v_mul_f64 v[11:12], v[11:12], s[14:15]
	v_fma_f64 v[80:81], v[6:7], s[12:13], -v[82:83]
	v_fma_f64 v[84:85], v[6:7], s[12:13], v[82:83]
	v_add_f64 v[138:139], v[80:81], v[112:113]
	v_fma_f64 v[80:81], v[4:5], s[18:19], -v[13:14]
	v_fma_f64 v[4:5], v[4:5], s[18:19], v[13:14]
	v_add_f64 v[116:117], v[84:85], v[116:117]
	v_add_f64 v[140:141], v[80:81], v[114:115]
	;; [unrolled: 1-line block ×3, first 2 shown]
	v_fma_f64 v[0:1], v[6:7], s[18:19], -v[11:12]
	v_mul_f64 v[4:5], v[150:151], s[36:37]
	v_fma_f64 v[80:81], v[6:7], s[18:19], v[11:12]
	v_mul_f64 v[6:7], v[148:149], s[36:37]
	v_add_f64 v[11:12], v[0:1], v[2:3]
	v_fma_f64 v[0:1], v[144:145], s[34:35], -v[4:5]
	v_fma_f64 v[4:5], v[144:145], s[34:35], v[4:5]
	v_fma_f64 v[2:3], v[146:147], s[34:35], v[6:7]
	v_fma_f64 v[6:7], v[146:147], s[34:35], -v[6:7]
	v_add_f64 v[142:143], v[80:81], v[118:119]
	v_add_f64 v[0:1], v[0:1], v[17:18]
	;; [unrolled: 1-line block ×3, first 2 shown]
	v_mul_f64 v[15:16], v[150:151], s[44:45]
	v_add_f64 v[6:7], v[6:7], v[19:20]
	v_add_f64 v[2:3], v[2:3], v[21:22]
	v_fma_f64 v[17:18], v[144:145], s[20:21], -v[15:16]
	v_fma_f64 v[15:16], v[144:145], s[20:21], v[15:16]
	v_add_f64 v[72:73], v[17:18], v[25:26]
	v_mul_f64 v[17:18], v[148:149], s[44:45]
	v_add_f64 v[76:77], v[15:16], v[23:24]
	v_fma_f64 v[15:16], v[146:147], s[20:21], -v[17:18]
	v_fma_f64 v[19:20], v[146:147], s[20:21], v[17:18]
	v_add_f64 v[78:79], v[15:16], v[27:28]
	v_mul_f64 v[15:16], v[150:151], s[26:27]
	;; [unrolled: 5-line block ×5, first 2 shown]
	v_fma_f64 v[19:20], v[146:147], s[12:13], v[17:18]
	v_add_f64 v[90:91], v[19:20], v[92:93]
	v_add_f64 v[92:93], v[15:16], v[39:40]
	v_fma_f64 v[15:16], v[146:147], s[12:13], -v[17:18]
	v_add_f64 v[94:95], v[15:16], v[120:121]
	v_mul_f64 v[15:16], v[150:151], s[24:25]
	v_fma_f64 v[17:18], v[144:145], s[22:23], -v[15:16]
	v_fma_f64 v[15:16], v[144:145], s[22:23], v[15:16]
	v_add_f64 v[96:97], v[17:18], v[122:123]
	v_mul_f64 v[17:18], v[148:149], s[24:25]
	v_fma_f64 v[19:20], v[146:147], s[22:23], v[17:18]
	v_add_f64 v[98:99], v[19:20], v[100:101]
	v_add_f64 v[100:101], v[15:16], v[124:125]
	v_fma_f64 v[15:16], v[146:147], s[22:23], -v[17:18]
	v_add_f64 v[102:103], v[15:16], v[126:127]
	v_mul_f64 v[15:16], v[150:151], s[38:39]
	v_fma_f64 v[17:18], v[144:145], s[2:3], -v[15:16]
	v_fma_f64 v[15:16], v[144:145], s[2:3], v[15:16]
	v_add_f64 v[104:105], v[17:18], v[128:129]
	v_mul_f64 v[17:18], v[148:149], s[38:39]
	;; [unrolled: 10-line block ×4, first 2 shown]
	v_add_f64 v[124:125], v[15:16], v[13:14]
	v_fma_f64 v[19:20], v[146:147], s[0:1], v[17:18]
	v_fma_f64 v[13:14], v[146:147], s[0:1], -v[17:18]
	v_add_f64 v[122:123], v[19:20], v[142:143]
	v_add_f64 v[126:127], v[13:14], v[11:12]
	ds_write_b128 v9, v[68:71]
	ds_write_b128 v9, v[0:3] offset:16
	ds_write_b128 v9, v[72:75] offset:32
	ds_write_b128 v9, v[80:83] offset:48
	ds_write_b128 v9, v[88:91] offset:64
	ds_write_b128 v9, v[96:99] offset:80
	ds_write_b128 v9, v[104:107] offset:96
	ds_write_b128 v9, v[112:115] offset:112
	ds_write_b128 v9, v[120:123] offset:128
	ds_write_b128 v9, v[124:127] offset:144
	ds_write_b128 v9, v[116:119] offset:160
	ds_write_b128 v9, v[108:111] offset:176
	ds_write_b128 v9, v[100:103] offset:192
	ds_write_b128 v9, v[92:95] offset:208
	ds_write_b128 v9, v[84:87] offset:224
	ds_write_b128 v9, v[76:79] offset:240
	ds_write_b128 v9, v[4:7] offset:256
	v_mul_lo_u16_sdwa v4, v60, s60 dst_sel:DWORD dst_unused:UNUSED_PAD src0_sel:BYTE_0 src1_sel:DWORD
	v_lshrrev_b16_e32 v4, 12, v4
	v_mul_lo_u16_e32 v5, 17, v4
	v_sub_u16_e32 v5, v60, v5
	v_and_b32_e32 v5, 0xff, v5
	v_lshlrev_b32_e32 v11, 8, v5
	s_waitcnt lgkmcnt(0)
	s_barrier
	ds_read_b128 v[72:75], v8
	ds_read_b128 v[84:87], v8 offset:1632
	ds_read_b128 v[88:91], v8 offset:3264
	;; [unrolled: 1-line block ×16, first 2 shown]
	global_load_dwordx4 v[128:131], v11, s[10:11] offset:48
	global_load_dwordx4 v[132:135], v11, s[10:11] offset:32
	;; [unrolled: 1-line block ×3, first 2 shown]
	global_load_dwordx4 v[152:155], v11, s[10:11]
	global_load_dwordx4 v[140:143], v11, s[10:11] offset:112
	global_load_dwordx4 v[144:147], v11, s[10:11] offset:96
	;; [unrolled: 1-line block ×4, first 2 shown]
	v_mul_u32_u24_e32 v4, 0x121, v4
	s_waitcnt vmcnt(4) lgkmcnt(14)
	v_mul_f64 v[6:7], v[86:87], v[154:155]
	v_fma_f64 v[198:199], v[84:85], v[152:153], -v[6:7]
	v_mul_f64 v[6:7], v[84:85], v[154:155]
	v_fma_f64 v[196:197], v[86:87], v[152:153], v[6:7]
	v_mul_f64 v[6:7], v[90:91], v[138:139]
	v_fma_f64 v[126:127], v[88:89], v[136:137], -v[6:7]
	v_mul_f64 v[6:7], v[88:89], v[138:139]
	v_fma_f64 v[124:125], v[90:91], v[136:137], v[6:7]
	s_waitcnt lgkmcnt(13)
	v_mul_f64 v[6:7], v[94:95], v[134:135]
	v_fma_f64 v[122:123], v[92:93], v[132:133], -v[6:7]
	v_mul_f64 v[6:7], v[92:93], v[134:135]
	v_fma_f64 v[120:121], v[94:95], v[132:133], v[6:7]
	s_waitcnt lgkmcnt(12)
	v_mul_f64 v[6:7], v[98:99], v[130:131]
	v_fma_f64 v[114:115], v[96:97], v[128:129], -v[6:7]
	v_mul_f64 v[6:7], v[96:97], v[130:131]
	v_fma_f64 v[112:113], v[98:99], v[128:129], v[6:7]
	s_waitcnt vmcnt(0) lgkmcnt(11)
	v_mul_f64 v[6:7], v[102:103], v[170:171]
	v_fma_f64 v[110:111], v[100:101], v[168:169], -v[6:7]
	v_mul_f64 v[6:7], v[100:101], v[170:171]
	v_fma_f64 v[108:109], v[102:103], v[168:169], v[6:7]
	s_waitcnt lgkmcnt(10)
	v_mul_f64 v[6:7], v[106:107], v[150:151]
	v_fma_f64 v[102:103], v[104:105], v[148:149], -v[6:7]
	v_mul_f64 v[6:7], v[104:105], v[150:151]
	v_fma_f64 v[100:101], v[106:107], v[148:149], v[6:7]
	s_waitcnt lgkmcnt(9)
	;; [unrolled: 5-line block ×3, first 2 shown]
	v_mul_f64 v[6:7], v[158:159], v[142:143]
	v_fma_f64 v[86:87], v[156:157], v[140:141], -v[6:7]
	v_mul_f64 v[6:7], v[156:157], v[142:143]
	v_fma_f64 v[84:85], v[158:159], v[140:141], v[6:7]
	global_load_dwordx4 v[156:159], v11, s[10:11] offset:176
	global_load_dwordx4 v[160:163], v11, s[10:11] offset:160
	;; [unrolled: 1-line block ×4, first 2 shown]
	s_waitcnt vmcnt(0) lgkmcnt(7)
	v_mul_f64 v[6:7], v[174:175], v[186:187]
	v_fma_f64 v[90:91], v[172:173], v[184:185], -v[6:7]
	v_mul_f64 v[6:7], v[172:173], v[186:187]
	v_fma_f64 v[88:89], v[174:175], v[184:185], v[6:7]
	s_waitcnt lgkmcnt(6)
	v_mul_f64 v[6:7], v[178:179], v[166:167]
	v_fma_f64 v[98:99], v[176:177], v[164:165], -v[6:7]
	v_mul_f64 v[6:7], v[176:177], v[166:167]
	v_fma_f64 v[96:97], v[178:179], v[164:165], v[6:7]
	s_waitcnt lgkmcnt(5)
	v_mul_f64 v[6:7], v[182:183], v[162:163]
	v_fma_f64 v[106:107], v[180:181], v[160:161], -v[6:7]
	v_mul_f64 v[6:7], v[180:181], v[162:163]
	v_fma_f64 v[104:105], v[182:183], v[160:161], v[6:7]
	global_load_dwordx4 v[172:175], v11, s[10:11] offset:240
	global_load_dwordx4 v[176:179], v11, s[10:11] offset:224
	;; [unrolled: 1-line block ×4, first 2 shown]
	s_waitcnt lgkmcnt(4)
	v_mul_f64 v[6:7], v[190:191], v[158:159]
	v_add_f64 v[11:12], v[74:75], v[196:197]
	s_waitcnt vmcnt(0) lgkmcnt(0)
	s_barrier
	v_fma_f64 v[118:119], v[188:189], v[156:157], -v[6:7]
	v_mul_f64 v[6:7], v[188:189], v[158:159]
	v_add_f64 v[11:12], v[11:12], v[124:125]
	v_fma_f64 v[116:117], v[190:191], v[156:157], v[6:7]
	v_add_f64 v[11:12], v[11:12], v[120:121]
	v_add_f64 v[11:12], v[11:12], v[112:113]
	;; [unrolled: 1-line block ×8, first 2 shown]
	v_mul_f64 v[6:7], v[82:83], v[194:195]
	v_add_f64 v[11:12], v[11:12], v[104:105]
	v_fma_f64 v[188:189], v[80:81], v[192:193], -v[6:7]
	v_mul_f64 v[6:7], v[80:81], v[194:195]
	v_add_f64 v[11:12], v[11:12], v[116:117]
	v_fma_f64 v[80:81], v[82:83], v[192:193], v[6:7]
	v_mul_f64 v[6:7], v[78:79], v[182:183]
	v_add_f64 v[11:12], v[11:12], v[80:81]
	v_fma_f64 v[82:83], v[76:77], v[180:181], -v[6:7]
	v_mul_f64 v[6:7], v[76:77], v[182:183]
	v_fma_f64 v[76:77], v[78:79], v[180:181], v[6:7]
	v_mul_f64 v[6:7], v[70:71], v[178:179]
	v_add_f64 v[11:12], v[11:12], v[76:77]
	v_fma_f64 v[190:191], v[68:69], v[176:177], -v[6:7]
	v_mul_f64 v[6:7], v[68:69], v[178:179]
	;; [unrolled: 5-line block ×3, first 2 shown]
	v_fma_f64 v[0:1], v[2:3], v[172:173], v[0:1]
	v_add_f64 v[2:3], v[72:73], v[198:199]
	v_add_f64 v[70:71], v[11:12], v[0:1]
	;; [unrolled: 1-line block ×4, first 2 shown]
	v_add_f64 v[0:1], v[196:197], -v[0:1]
	v_add_f64 v[2:3], v[2:3], v[122:123]
	v_mul_f64 v[13:14], v[0:1], s[30:31]
	v_mul_f64 v[21:22], v[0:1], s[42:43]
	;; [unrolled: 1-line block ×6, first 2 shown]
	v_add_f64 v[2:3], v[2:3], v[114:115]
	v_add_f64 v[2:3], v[2:3], v[110:111]
	;; [unrolled: 1-line block ×14, first 2 shown]
	v_add_f64 v[6:7], v[198:199], -v[6:7]
	v_mul_f64 v[198:199], v[0:1], s[14:15]
	v_mul_f64 v[0:1], v[0:1], s[36:37]
	v_fma_f64 v[15:16], v[2:3], s[20:21], -v[13:14]
	v_mul_f64 v[17:18], v[6:7], s[30:31]
	v_mul_f64 v[25:26], v[6:7], s[42:43]
	;; [unrolled: 1-line block ×8, first 2 shown]
	v_fma_f64 v[19:20], v[11:12], s[20:21], v[17:18]
	v_fma_f64 v[13:14], v[2:3], s[20:21], v[13:14]
	v_fma_f64 v[17:18], v[11:12], s[20:21], -v[17:18]
	v_fma_f64 v[23:24], v[2:3], s[12:13], -v[21:22]
	v_fma_f64 v[27:28], v[11:12], s[12:13], v[25:26]
	v_fma_f64 v[21:22], v[2:3], s[12:13], v[21:22]
	v_fma_f64 v[25:26], v[11:12], s[12:13], -v[25:26]
	v_fma_f64 v[31:32], v[2:3], s[2:3], -v[29:30]
	;; [unrolled: 4-line block ×7, first 2 shown]
	v_fma_f64 v[224:225], v[11:12], s[34:35], v[6:7]
	v_fma_f64 v[0:1], v[2:3], s[34:35], v[0:1]
	v_fma_f64 v[2:3], v[11:12], s[34:35], -v[6:7]
	v_add_f64 v[19:20], v[74:75], v[19:20]
	v_add_f64 v[17:18], v[74:75], v[17:18]
	;; [unrolled: 1-line block ×16, first 2 shown]
	v_add_f64 v[74:75], v[124:125], -v[78:79]
	v_add_f64 v[6:7], v[126:127], v[190:191]
	v_add_f64 v[11:12], v[124:125], v[78:79]
	;; [unrolled: 1-line block ×7, first 2 shown]
	v_mul_f64 v[78:79], v[74:75], s[42:43]
	v_add_f64 v[29:30], v[72:73], v[29:30]
	v_add_f64 v[39:40], v[72:73], v[39:40]
	;; [unrolled: 1-line block ×11, first 2 shown]
	v_add_f64 v[72:73], v[126:127], -v[190:191]
	v_fma_f64 v[124:125], v[6:7], s[12:13], -v[78:79]
	v_fma_f64 v[78:79], v[6:7], s[12:13], v[78:79]
	v_mul_f64 v[190:191], v[72:73], s[54:55]
	v_add_f64 v[15:16], v[124:125], v[15:16]
	v_mul_f64 v[124:125], v[72:73], s[42:43]
	v_add_f64 v[13:14], v[78:79], v[13:14]
	v_fma_f64 v[78:79], v[11:12], s[12:13], -v[124:125]
	v_fma_f64 v[126:127], v[11:12], s[12:13], v[124:125]
	v_add_f64 v[17:18], v[78:79], v[17:18]
	v_mul_f64 v[78:79], v[74:75], s[40:41]
	v_add_f64 v[19:20], v[126:127], v[19:20]
	v_fma_f64 v[124:125], v[6:7], s[0:1], -v[78:79]
	v_fma_f64 v[78:79], v[6:7], s[0:1], v[78:79]
	;; [unrolled: 5-line block ×7, first 2 shown]
	v_add_f64 v[41:42], v[78:79], v[41:42]
	v_mul_f64 v[78:79], v[74:75], s[54:55]
	v_add_f64 v[126:127], v[126:127], v[196:197]
	v_fma_f64 v[196:197], v[11:12], s[28:29], v[190:191]
	v_fma_f64 v[190:191], v[11:12], s[28:29], -v[190:191]
	v_fma_f64 v[124:125], v[6:7], s[28:29], -v[78:79]
	v_fma_f64 v[78:79], v[6:7], s[28:29], v[78:79]
	v_add_f64 v[196:197], v[196:197], v[204:205]
	v_add_f64 v[190:191], v[190:191], v[202:203]
	v_mul_f64 v[202:203], v[72:73], s[50:51]
	v_add_f64 v[124:125], v[124:125], v[200:201]
	v_add_f64 v[78:79], v[78:79], v[198:199]
	v_mul_f64 v[198:199], v[74:75], s[50:51]
	v_fma_f64 v[204:205], v[11:12], s[18:19], v[202:203]
	v_fma_f64 v[202:203], v[11:12], s[18:19], -v[202:203]
	v_fma_f64 v[200:201], v[6:7], s[18:19], -v[198:199]
	v_fma_f64 v[198:199], v[6:7], s[18:19], v[198:199]
	v_add_f64 v[204:205], v[204:205], v[212:213]
	v_add_f64 v[202:203], v[202:203], v[210:211]
	v_mul_f64 v[210:211], v[72:73], s[38:39]
	v_mul_f64 v[72:73], v[72:73], s[44:45]
	v_add_f64 v[200:201], v[200:201], v[208:209]
	v_add_f64 v[198:199], v[198:199], v[206:207]
	v_mul_f64 v[206:207], v[74:75], s[38:39]
	v_mul_f64 v[74:75], v[74:75], s[44:45]
	v_fma_f64 v[212:213], v[11:12], s[2:3], v[210:211]
	v_fma_f64 v[210:211], v[11:12], s[2:3], -v[210:211]
	v_fma_f64 v[208:209], v[6:7], s[2:3], -v[206:207]
	v_fma_f64 v[206:207], v[6:7], s[2:3], v[206:207]
	v_add_f64 v[212:213], v[212:213], v[220:221]
	v_add_f64 v[210:211], v[210:211], v[218:219]
	;; [unrolled: 1-line block ×4, first 2 shown]
	v_fma_f64 v[214:215], v[6:7], s[20:21], -v[74:75]
	v_fma_f64 v[6:7], v[6:7], s[20:21], v[74:75]
	v_add_f64 v[74:75], v[120:121], -v[76:77]
	v_fma_f64 v[216:217], v[11:12], s[20:21], v[72:73]
	v_add_f64 v[214:215], v[214:215], v[222:223]
	v_add_f64 v[0:1], v[6:7], v[0:1]
	v_fma_f64 v[6:7], v[11:12], s[20:21], -v[72:73]
	v_add_f64 v[11:12], v[120:121], v[76:77]
	v_mul_f64 v[76:77], v[74:75], s[48:49]
	v_add_f64 v[72:73], v[122:123], -v[82:83]
	v_add_f64 v[216:217], v[216:217], v[224:225]
	v_add_f64 v[2:3], v[6:7], v[2:3]
	;; [unrolled: 1-line block ×3, first 2 shown]
	v_mul_f64 v[122:123], v[72:73], s[46:47]
	v_fma_f64 v[82:83], v[6:7], s[2:3], -v[76:77]
	v_fma_f64 v[76:77], v[6:7], s[2:3], v[76:77]
	v_add_f64 v[15:16], v[82:83], v[15:16]
	v_mul_f64 v[82:83], v[72:73], s[48:49]
	v_add_f64 v[13:14], v[76:77], v[13:14]
	v_fma_f64 v[76:77], v[11:12], s[2:3], -v[82:83]
	v_fma_f64 v[120:121], v[11:12], s[2:3], v[82:83]
	v_add_f64 v[17:18], v[76:77], v[17:18]
	v_mul_f64 v[76:77], v[74:75], s[24:25]
	v_add_f64 v[19:20], v[120:121], v[19:20]
	;; [unrolled: 5-line block ×8, first 2 shown]
	v_fma_f64 v[82:83], v[6:7], s[12:13], -v[76:77]
	v_fma_f64 v[76:77], v[6:7], s[12:13], v[76:77]
	v_add_f64 v[82:83], v[82:83], v[124:125]
	v_fma_f64 v[124:125], v[11:12], s[12:13], v[122:123]
	v_add_f64 v[76:77], v[76:77], v[78:79]
	v_fma_f64 v[78:79], v[11:12], s[12:13], -v[122:123]
	v_mul_f64 v[122:123], v[74:75], s[30:31]
	v_add_f64 v[124:125], v[124:125], v[196:197]
	v_add_f64 v[78:79], v[78:79], v[190:191]
	v_fma_f64 v[126:127], v[6:7], s[20:21], -v[122:123]
	v_fma_f64 v[122:123], v[6:7], s[20:21], v[122:123]
	v_mul_f64 v[190:191], v[72:73], s[30:31]
	v_add_f64 v[126:127], v[126:127], v[200:201]
	v_add_f64 v[122:123], v[122:123], v[198:199]
	v_mul_f64 v[198:199], v[74:75], s[40:41]
	v_fma_f64 v[196:197], v[11:12], s[20:21], v[190:191]
	v_fma_f64 v[190:191], v[11:12], s[20:21], -v[190:191]
	v_mul_f64 v[74:75], v[74:75], s[26:27]
	v_fma_f64 v[200:201], v[6:7], s[0:1], -v[198:199]
	v_fma_f64 v[198:199], v[6:7], s[0:1], v[198:199]
	v_add_f64 v[190:191], v[190:191], v[202:203]
	v_mul_f64 v[202:203], v[72:73], s[40:41]
	v_mul_f64 v[72:73], v[72:73], s[26:27]
	v_add_f64 v[196:197], v[196:197], v[204:205]
	v_add_f64 v[200:201], v[200:201], v[208:209]
	;; [unrolled: 1-line block ×3, first 2 shown]
	v_fma_f64 v[206:207], v[6:7], s[28:29], -v[74:75]
	v_fma_f64 v[6:7], v[6:7], s[28:29], v[74:75]
	v_add_f64 v[74:75], v[112:113], -v[80:81]
	v_fma_f64 v[204:205], v[11:12], s[0:1], v[202:203]
	v_fma_f64 v[202:203], v[11:12], s[0:1], -v[202:203]
	v_fma_f64 v[208:209], v[11:12], s[28:29], v[72:73]
	v_add_f64 v[206:207], v[206:207], v[214:215]
	v_add_f64 v[0:1], v[6:7], v[0:1]
	v_fma_f64 v[6:7], v[11:12], s[28:29], -v[72:73]
	v_add_f64 v[11:12], v[112:113], v[80:81]
	v_mul_f64 v[80:81], v[74:75], s[40:41]
	v_add_f64 v[72:73], v[114:115], -v[188:189]
	v_add_f64 v[202:203], v[202:203], v[210:211]
	v_add_f64 v[204:205], v[204:205], v[212:213]
	;; [unrolled: 1-line block ×3, first 2 shown]
	v_add_f64 v[212:213], v[84:85], -v[88:89]
	v_add_f64 v[2:3], v[6:7], v[2:3]
	v_add_f64 v[6:7], v[114:115], v[188:189]
	v_fma_f64 v[112:113], v[6:7], s[0:1], -v[80:81]
	v_fma_f64 v[80:81], v[6:7], s[0:1], v[80:81]
	v_add_f64 v[15:16], v[112:113], v[15:16]
	v_mul_f64 v[112:113], v[72:73], s[40:41]
	v_add_f64 v[13:14], v[80:81], v[13:14]
	v_fma_f64 v[80:81], v[11:12], s[0:1], -v[112:113]
	v_fma_f64 v[114:115], v[11:12], s[0:1], v[112:113]
	v_add_f64 v[17:18], v[80:81], v[17:18]
	v_mul_f64 v[80:81], v[74:75], s[36:37]
	;; [unrolled: 5-line block ×10, first 2 shown]
	v_add_f64 v[120:121], v[120:121], v[124:125]
	v_mul_f64 v[124:125], v[72:73], s[26:27]
	v_fma_f64 v[112:113], v[6:7], s[28:29], -v[80:81]
	v_fma_f64 v[80:81], v[6:7], s[28:29], v[80:81]
	v_add_f64 v[112:113], v[112:113], v[126:127]
	v_fma_f64 v[126:127], v[11:12], s[28:29], v[124:125]
	v_add_f64 v[80:81], v[80:81], v[122:123]
	v_fma_f64 v[122:123], v[11:12], s[28:29], -v[124:125]
	v_mul_f64 v[124:125], v[74:75], s[56:57]
	v_mul_f64 v[74:75], v[74:75], s[46:47]
	v_add_f64 v[126:127], v[126:127], v[196:197]
	v_add_f64 v[122:123], v[122:123], v[190:191]
	v_fma_f64 v[188:189], v[6:7], s[22:23], -v[124:125]
	v_fma_f64 v[124:125], v[6:7], s[22:23], v[124:125]
	v_mul_f64 v[190:191], v[72:73], s[56:57]
	v_mul_f64 v[72:73], v[72:73], s[46:47]
	v_add_f64 v[188:189], v[188:189], v[200:201]
	v_add_f64 v[124:125], v[124:125], v[198:199]
	v_fma_f64 v[198:199], v[6:7], s[12:13], -v[74:75]
	v_fma_f64 v[6:7], v[6:7], s[12:13], v[74:75]
	v_add_f64 v[74:75], v[108:109], -v[116:117]
	v_fma_f64 v[196:197], v[11:12], s[22:23], v[190:191]
	v_fma_f64 v[190:191], v[11:12], s[22:23], -v[190:191]
	v_fma_f64 v[200:201], v[11:12], s[12:13], v[72:73]
	v_add_f64 v[198:199], v[198:199], v[206:207]
	v_add_f64 v[0:1], v[6:7], v[0:1]
	v_fma_f64 v[6:7], v[11:12], s[12:13], -v[72:73]
	v_add_f64 v[11:12], v[108:109], v[116:117]
	v_mul_f64 v[108:109], v[74:75], s[14:15]
	v_add_f64 v[72:73], v[110:111], -v[118:119]
	v_add_f64 v[190:191], v[190:191], v[202:203]
	v_add_f64 v[200:201], v[200:201], v[208:209]
	v_add_f64 v[196:197], v[196:197], v[204:205]
	v_add_f64 v[2:3], v[6:7], v[2:3]
	v_add_f64 v[6:7], v[110:111], v[118:119]
	v_fma_f64 v[110:111], v[6:7], s[18:19], -v[108:109]
	v_fma_f64 v[108:109], v[6:7], s[18:19], v[108:109]
	v_add_f64 v[15:16], v[110:111], v[15:16]
	v_mul_f64 v[110:111], v[72:73], s[14:15]
	v_add_f64 v[13:14], v[108:109], v[13:14]
	v_fma_f64 v[108:109], v[11:12], s[18:19], -v[110:111]
	v_fma_f64 v[116:117], v[11:12], s[18:19], v[110:111]
	v_add_f64 v[17:18], v[108:109], v[17:18]
	v_mul_f64 v[108:109], v[74:75], s[54:55]
	v_add_f64 v[19:20], v[116:117], v[19:20]
	;; [unrolled: 5-line block ×11, first 2 shown]
	v_fma_f64 v[118:119], v[11:12], s[0:1], v[112:113]
	v_fma_f64 v[108:109], v[11:12], s[0:1], -v[112:113]
	v_mul_f64 v[112:113], v[74:75], s[30:31]
	v_mul_f64 v[74:75], v[74:75], s[24:25]
	v_add_f64 v[118:119], v[118:119], v[126:127]
	v_add_f64 v[108:109], v[108:109], v[122:123]
	v_fma_f64 v[120:121], v[6:7], s[20:21], -v[112:113]
	v_fma_f64 v[112:113], v[6:7], s[20:21], v[112:113]
	v_mul_f64 v[122:123], v[72:73], s[30:31]
	v_mul_f64 v[72:73], v[72:73], s[24:25]
	v_add_f64 v[120:121], v[120:121], v[188:189]
	v_add_f64 v[112:113], v[112:113], v[124:125]
	v_fma_f64 v[124:125], v[6:7], s[22:23], -v[74:75]
	v_fma_f64 v[6:7], v[6:7], s[22:23], v[74:75]
	v_add_f64 v[74:75], v[100:101], -v[104:105]
	v_fma_f64 v[126:127], v[11:12], s[20:21], v[122:123]
	v_fma_f64 v[122:123], v[11:12], s[20:21], -v[122:123]
	v_fma_f64 v[188:189], v[11:12], s[22:23], v[72:73]
	v_add_f64 v[124:125], v[124:125], v[198:199]
	v_add_f64 v[0:1], v[6:7], v[0:1]
	v_fma_f64 v[6:7], v[11:12], s[22:23], -v[72:73]
	v_add_f64 v[11:12], v[100:101], v[104:105]
	v_mul_f64 v[100:101], v[74:75], s[24:25]
	v_add_f64 v[72:73], v[102:103], -v[106:107]
	v_add_f64 v[122:123], v[122:123], v[190:191]
	v_add_f64 v[188:189], v[188:189], v[200:201]
	v_add_f64 v[190:191], v[86:87], -v[90:91]
	v_add_f64 v[126:127], v[126:127], v[196:197]
	v_add_f64 v[2:3], v[6:7], v[2:3]
	;; [unrolled: 1-line block ×3, first 2 shown]
	v_fma_f64 v[102:103], v[6:7], s[22:23], -v[100:101]
	v_fma_f64 v[100:101], v[6:7], s[22:23], v[100:101]
	v_add_f64 v[15:16], v[102:103], v[15:16]
	v_mul_f64 v[102:103], v[72:73], s[24:25]
	v_add_f64 v[13:14], v[100:101], v[13:14]
	v_fma_f64 v[100:101], v[11:12], s[22:23], -v[102:103]
	v_fma_f64 v[104:105], v[11:12], s[22:23], v[102:103]
	v_add_f64 v[17:18], v[100:101], v[17:18]
	v_mul_f64 v[100:101], v[74:75], s[50:51]
	v_add_f64 v[19:20], v[104:105], v[19:20]
	;; [unrolled: 5-line block ×10, first 2 shown]
	v_mul_f64 v[116:117], v[72:73], s[36:37]
	v_fma_f64 v[102:103], v[6:7], s[12:13], -v[100:101]
	v_fma_f64 v[100:101], v[6:7], s[12:13], v[100:101]
	v_add_f64 v[102:103], v[102:103], v[110:111]
	v_mul_f64 v[110:111], v[72:73], s[42:43]
	v_add_f64 v[80:81], v[100:101], v[80:81]
	v_mul_f64 v[72:73], v[72:73], s[38:39]
	v_fma_f64 v[100:101], v[11:12], s[12:13], -v[110:111]
	v_fma_f64 v[114:115], v[11:12], s[12:13], v[110:111]
	v_add_f64 v[100:101], v[100:101], v[108:109]
	v_mul_f64 v[108:109], v[74:75], s[36:37]
	v_mul_f64 v[74:75], v[74:75], s[38:39]
	v_add_f64 v[114:115], v[114:115], v[118:119]
	v_fma_f64 v[118:119], v[11:12], s[34:35], v[116:117]
	v_fma_f64 v[110:111], v[6:7], s[34:35], -v[108:109]
	v_fma_f64 v[108:109], v[6:7], s[34:35], v[108:109]
	v_add_f64 v[118:119], v[118:119], v[126:127]
	v_add_f64 v[110:111], v[110:111], v[120:121]
	v_add_f64 v[108:109], v[108:109], v[112:113]
	v_fma_f64 v[112:113], v[11:12], s[34:35], -v[116:117]
	v_fma_f64 v[116:117], v[6:7], s[2:3], -v[74:75]
	v_fma_f64 v[6:7], v[6:7], s[2:3], v[74:75]
	v_add_f64 v[74:75], v[92:93], -v[96:97]
	v_fma_f64 v[120:121], v[11:12], s[2:3], v[72:73]
	v_add_f64 v[112:113], v[112:113], v[122:123]
	v_add_f64 v[116:117], v[116:117], v[124:125]
	;; [unrolled: 1-line block ×3, first 2 shown]
	v_fma_f64 v[6:7], v[11:12], s[2:3], -v[72:73]
	v_add_f64 v[11:12], v[92:93], v[96:97]
	v_mul_f64 v[92:93], v[74:75], s[26:27]
	v_add_f64 v[72:73], v[94:95], -v[98:99]
	v_add_f64 v[122:123], v[86:87], v[90:91]
	v_add_f64 v[120:121], v[120:121], v[188:189]
	;; [unrolled: 1-line block ×5, first 2 shown]
	v_fma_f64 v[94:95], v[6:7], s[28:29], -v[92:93]
	v_fma_f64 v[92:93], v[6:7], s[28:29], v[92:93]
	v_add_f64 v[15:16], v[94:95], v[15:16]
	v_mul_f64 v[94:95], v[72:73], s[26:27]
	v_add_f64 v[13:14], v[92:93], v[13:14]
	v_fma_f64 v[92:93], v[11:12], s[28:29], -v[94:95]
	v_fma_f64 v[96:97], v[11:12], s[28:29], v[94:95]
	v_add_f64 v[17:18], v[92:93], v[17:18]
	v_mul_f64 v[92:93], v[74:75], s[38:39]
	v_add_f64 v[19:20], v[96:97], v[19:20]
	;; [unrolled: 5-line block ×10, first 2 shown]
	v_fma_f64 v[78:79], v[6:7], s[34:35], -v[76:77]
	v_fma_f64 v[76:77], v[6:7], s[34:35], v[76:77]
	v_add_f64 v[102:103], v[78:79], v[102:103]
	v_mul_f64 v[78:79], v[72:73], s[36:37]
	v_fma_f64 v[82:83], v[11:12], s[34:35], v[78:79]
	v_add_f64 v[106:107], v[82:83], v[114:115]
	v_add_f64 v[114:115], v[76:77], v[80:81]
	v_fma_f64 v[76:77], v[11:12], s[34:35], -v[78:79]
	v_add_f64 v[100:101], v[76:77], v[100:101]
	v_mul_f64 v[76:77], v[74:75], s[46:47]
	v_mul_f64 v[74:75], v[74:75], s[14:15]
	v_fma_f64 v[78:79], v[6:7], s[12:13], -v[76:77]
	v_fma_f64 v[76:77], v[6:7], s[12:13], v[76:77]
	v_add_f64 v[110:111], v[78:79], v[110:111]
	v_mul_f64 v[78:79], v[72:73], s[46:47]
	v_add_f64 v[108:109], v[76:77], v[108:109]
	v_mul_f64 v[72:73], v[72:73], s[14:15]
	v_fma_f64 v[76:77], v[11:12], s[12:13], -v[78:79]
	v_fma_f64 v[80:81], v[11:12], s[12:13], v[78:79]
	v_add_f64 v[112:113], v[76:77], v[112:113]
	v_fma_f64 v[76:77], v[6:7], s[18:19], -v[74:75]
	v_fma_f64 v[6:7], v[6:7], s[18:19], v[74:75]
	v_add_f64 v[118:119], v[80:81], v[118:119]
	v_add_f64 v[116:117], v[76:77], v[116:117]
	v_fma_f64 v[76:77], v[11:12], s[18:19], v[72:73]
	v_add_f64 v[6:7], v[6:7], v[0:1]
	v_fma_f64 v[0:1], v[11:12], s[18:19], -v[72:73]
	v_mul_f64 v[72:73], v[212:213], s[36:37]
	v_add_f64 v[120:121], v[76:77], v[120:121]
	v_add_f64 v[11:12], v[0:1], v[2:3]
	v_fma_f64 v[0:1], v[122:123], s[34:35], -v[72:73]
	v_add_f64 v[0:1], v[0:1], v[15:16]
	v_mul_f64 v[15:16], v[190:191], s[36:37]
	v_fma_f64 v[2:3], v[188:189], s[34:35], v[15:16]
	v_add_f64 v[2:3], v[2:3], v[19:20]
	v_fma_f64 v[19:20], v[122:123], s[34:35], v[72:73]
	v_add_f64 v[124:125], v[19:20], v[13:14]
	v_fma_f64 v[13:14], v[188:189], s[34:35], -v[15:16]
	v_add_f64 v[126:127], v[13:14], v[17:18]
	v_mul_f64 v[13:14], v[212:213], s[44:45]
	v_fma_f64 v[15:16], v[122:123], s[20:21], -v[13:14]
	v_fma_f64 v[13:14], v[122:123], s[20:21], v[13:14]
	v_add_f64 v[72:73], v[15:16], v[23:24]
	v_mul_f64 v[15:16], v[190:191], s[44:45]
	v_add_f64 v[200:201], v[13:14], v[21:22]
	v_fma_f64 v[13:14], v[188:189], s[20:21], -v[15:16]
	v_fma_f64 v[17:18], v[188:189], s[20:21], v[15:16]
	v_add_f64 v[202:203], v[13:14], v[25:26]
	v_mul_f64 v[13:14], v[212:213], s[26:27]
	v_add_f64 v[74:75], v[17:18], v[27:28]
	;; [unrolled: 5-line block ×13, first 2 shown]
	v_fma_f64 v[17:18], v[188:189], s[0:1], v[15:16]
	v_fma_f64 v[6:7], v[188:189], s[0:1], -v[15:16]
	s_movk_i32 s0, 0x55
	v_cmp_gt_u16_e64 s[0:1], s0, v60
	v_add_f64 v[106:107], v[17:18], v[120:121]
	v_add_f64 v[110:111], v[6:7], v[11:12]
	v_add_lshl_u32 v11, v4, v5, 4
	ds_write_b128 v11, v[68:71]
	ds_write_b128 v11, v[0:3] offset:272
	ds_write_b128 v11, v[72:75] offset:544
	;; [unrolled: 1-line block ×16, first 2 shown]
	s_waitcnt lgkmcnt(0)
	s_barrier
	ds_read_b128 v[212:215], v8
	ds_read_b128 v[120:123], v8 offset:4624
	ds_read_b128 v[112:115], v8 offset:9248
	;; [unrolled: 1-line block ×11, first 2 shown]
	buffer_store_dword v60, off, s[64:67], 0 ; 4-byte Folded Spill
                                        ; implicit-def: $vgpr0_vgpr1
	s_and_saveexec_b64 s[2:3], s[0:1]
	s_cbranch_execz .LBB0_3
; %bb.2:
	ds_read_b128 v[196:199], v8 offset:3264
	ds_read_b128 v[208:211], v8 offset:7888
	;; [unrolled: 1-line block ×6, first 2 shown]
.LBB0_3:
	s_or_b64 exec, exec, s[2:3]
	buffer_load_dword v19, off, s[64:67], 0 ; 4-byte Folded Reload
	v_mov_b32_e32 v4, s10
	s_movk_i32 s2, 0x50
	v_mov_b32_e32 v5, s11
	s_movk_i32 s12, 0x1100
	s_waitcnt vmcnt(0)
	v_mad_u64_u32 v[12:13], s[2:3], v19, s2, v[4:5]
	v_add_u32_e32 v18, 0xcc, v19
	v_add_co_u32_e64 v4, s[2:3], s12, v12
	v_addc_co_u32_e64 v5, s[2:3], 0, v13, s[2:3]
	v_add_co_u32_e64 v14, s[2:3], s8, v12
	v_addc_co_u32_e64 v15, s[2:3], 0, v13, s[2:3]
	global_load_dwordx4 v[108:111], v[14:15], off offset:256
	global_load_dwordx4 v[92:95], v[4:5], off offset:48
	;; [unrolled: 1-line block ×4, first 2 shown]
	s_movk_i32 s2, 0x30e0
	s_waitcnt vmcnt(3) lgkmcnt(10)
	v_mul_f64 v[4:5], v[122:123], v[110:111]
	s_waitcnt vmcnt(2) lgkmcnt(7)
	v_mul_f64 v[16:17], v[96:97], v[94:95]
	s_waitcnt vmcnt(1)
	v_mul_f64 v[6:7], v[106:107], v[102:103]
	v_fma_f64 v[250:251], v[120:121], v[108:109], -v[4:5]
	v_mul_f64 v[4:5], v[120:121], v[110:111]
	v_fma_f64 v[244:245], v[104:105], v[100:101], -v[6:7]
	v_mul_f64 v[6:7], v[104:105], v[102:103]
	v_fma_f64 v[16:17], v[98:99], v[92:93], v[16:17]
	v_fma_f64 v[242:243], v[122:123], v[108:109], v[4:5]
	s_waitcnt vmcnt(0)
	v_mul_f64 v[4:5], v[114:115], v[118:119]
	v_fma_f64 v[248:249], v[106:107], v[100:101], v[6:7]
	v_mul_f64 v[6:7], v[98:99], v[94:95]
	v_fma_f64 v[254:255], v[112:113], v[116:117], -v[4:5]
	v_mul_f64 v[4:5], v[112:113], v[118:119]
	v_fma_f64 v[6:7], v[96:97], v[92:93], -v[6:7]
	v_fma_f64 v[4:5], v[114:115], v[116:117], v[4:5]
	global_load_dwordx4 v[112:115], v[14:15], off offset:320
	s_waitcnt vmcnt(0) lgkmcnt(6)
	v_mul_f64 v[14:15], v[90:91], v[114:115]
	v_fma_f64 v[246:247], v[88:89], v[112:113], -v[14:15]
	v_mul_f64 v[14:15], v[88:89], v[114:115]
	v_add_f64 v[28:29], v[244:245], -v[246:247]
	v_fma_f64 v[252:253], v[90:91], v[112:113], v[14:15]
	v_add_co_u32_e64 v14, s[2:3], s2, v12
	v_addc_co_u32_e64 v15, s[2:3], 0, v13, s[2:3]
	v_add_co_u32_e64 v12, s[2:3], s33, v12
	v_addc_co_u32_e64 v13, s[2:3], 0, v13, s[2:3]
	global_load_dwordx4 v[120:123], v[12:13], off offset:224
	global_load_dwordx4 v[88:91], v[14:15], off offset:48
	global_load_dwordx4 v[96:99], v[14:15], off offset:32
	global_load_dwordx4 v[104:107], v[14:15], off offset:16
	s_waitcnt vmcnt(3) lgkmcnt(4)
	v_mul_f64 v[14:15], v[86:87], v[122:123]
	v_fma_f64 v[232:233], v[84:85], v[120:121], -v[14:15]
	v_mul_f64 v[14:15], v[84:85], v[122:123]
	v_fma_f64 v[220:221], v[86:87], v[120:121], v[14:15]
	s_waitcnt vmcnt(0) lgkmcnt(3)
	v_mul_f64 v[14:15], v[82:83], v[106:107]
	v_fma_f64 v[234:235], v[80:81], v[104:105], -v[14:15]
	v_mul_f64 v[14:15], v[80:81], v[106:107]
	v_fma_f64 v[236:237], v[82:83], v[104:105], v[14:15]
	global_load_dwordx4 v[80:83], v[12:13], off offset:288
	s_waitcnt lgkmcnt(2)
	v_mul_f64 v[14:15], v[78:79], v[98:99]
	v_fma_f64 v[222:223], v[76:77], v[96:97], -v[14:15]
	v_mul_f64 v[14:15], v[76:77], v[98:99]
	v_fma_f64 v[228:229], v[78:79], v[96:97], v[14:15]
	s_waitcnt lgkmcnt(1)
	v_mul_f64 v[14:15], v[74:75], v[90:91]
	v_fma_f64 v[238:239], v[72:73], v[88:89], -v[14:15]
	v_mul_f64 v[14:15], v[72:73], v[90:91]
	v_fma_f64 v[240:241], v[74:75], v[88:89], v[14:15]
	s_waitcnt vmcnt(0) lgkmcnt(0)
	v_mul_f64 v[12:13], v[70:71], v[82:83]
	v_fma_f64 v[224:225], v[68:69], v[80:81], -v[12:13]
	v_mul_f64 v[12:13], v[68:69], v[82:83]
	v_fma_f64 v[230:231], v[70:71], v[80:81], v[12:13]
	v_add_u32_e32 v12, 0xffffffab, v19
	v_cndmask_b32_e64 v12, v12, v18, s[0:1]
	v_mul_hi_i32_i24_e32 v13, 0x50, v12
	v_mul_i32_i24_e32 v12, 0x50, v12
	v_add_co_u32_e64 v14, s[2:3], s10, v12
	v_mov_b32_e32 v12, s11
	v_addc_co_u32_e64 v15, s[2:3], v12, v13, s[2:3]
	v_add_co_u32_e64 v12, s[2:3], s12, v14
	v_addc_co_u32_e64 v13, s[2:3], 0, v15, s[2:3]
	v_add_co_u32_e64 v14, s[2:3], s8, v14
	v_addc_co_u32_e64 v15, s[2:3], 0, v15, s[2:3]
	global_load_dwordx4 v[68:71], v[14:15], off offset:256
	global_load_dwordx4 v[72:75], v[12:13], off offset:48
	;; [unrolled: 1-line block ×4, first 2 shown]
	s_mov_b32 s2, 0xe8584caa
	s_mov_b32 s3, 0x3febb67a
	;; [unrolled: 1-line block ×4, first 2 shown]
	s_waitcnt vmcnt(3)
	v_mul_f64 v[12:13], v[210:211], v[70:71]
	v_fma_f64 v[216:217], v[208:209], v[68:69], -v[12:13]
	v_mul_f64 v[12:13], v[208:209], v[70:71]
	v_fma_f64 v[210:211], v[210:211], v[68:69], v[12:13]
	s_waitcnt vmcnt(0)
	v_mul_f64 v[12:13], v[206:207], v[86:87]
	v_fma_f64 v[208:209], v[204:205], v[84:85], -v[12:13]
	v_mul_f64 v[12:13], v[204:205], v[86:87]
	v_fma_f64 v[206:207], v[206:207], v[84:85], v[12:13]
	v_mul_f64 v[12:13], v[202:203], v[78:79]
	v_fma_f64 v[204:205], v[200:201], v[76:77], -v[12:13]
	v_mul_f64 v[12:13], v[200:201], v[78:79]
	v_fma_f64 v[218:219], v[202:203], v[76:77], v[12:13]
	;; [unrolled: 4-line block ×3, first 2 shown]
	global_load_dwordx4 v[124:127], v[14:15], off offset:320
	v_add_f64 v[14:15], v[4:5], -v[16:17]
	s_waitcnt vmcnt(0)
	v_mul_f64 v[12:13], v[2:3], v[126:127]
	v_fma_f64 v[226:227], v[0:1], v[124:125], -v[12:13]
	v_add_f64 v[12:13], v[254:255], v[6:7]
	v_mul_f64 v[0:1], v[0:1], v[126:127]
	v_fma_f64 v[12:13], v[12:13], -0.5, v[212:213]
	v_fma_f64 v[0:1], v[2:3], v[124:125], v[0:1]
	v_add_f64 v[2:3], v[212:213], v[254:255]
	v_fma_f64 v[18:19], v[14:15], s[2:3], v[12:13]
	v_fma_f64 v[14:15], v[14:15], s[10:11], v[12:13]
	v_add_f64 v[12:13], v[214:215], v[4:5]
	v_add_f64 v[4:5], v[4:5], v[16:17]
	;; [unrolled: 1-line block ×3, first 2 shown]
	v_add_f64 v[6:7], v[254:255], -v[6:7]
	v_add_f64 v[22:23], v[12:13], v[16:17]
	v_add_f64 v[12:13], v[244:245], v[246:247]
	v_add_f64 v[16:17], v[248:249], -v[252:253]
	v_fma_f64 v[4:5], v[4:5], -0.5, v[214:215]
	v_fma_f64 v[12:13], v[12:13], -0.5, v[250:251]
	v_fma_f64 v[24:25], v[6:7], s[10:11], v[4:5]
	v_fma_f64 v[4:5], v[6:7], s[2:3], v[4:5]
	v_add_f64 v[6:7], v[250:251], v[244:245]
	v_fma_f64 v[20:21], v[16:17], s[2:3], v[12:13]
	v_fma_f64 v[12:13], v[16:17], s[10:11], v[12:13]
	v_add_f64 v[16:17], v[242:243], v[248:249]
	v_add_f64 v[6:7], v[6:7], v[246:247]
	v_mul_f64 v[32:33], v[12:13], -0.5
	v_add_f64 v[26:27], v[16:17], v[252:253]
	v_add_f64 v[16:17], v[248:249], v[252:253]
	;; [unrolled: 1-line block ×3, first 2 shown]
	v_fma_f64 v[16:17], v[16:17], -0.5, v[242:243]
	v_add_f64 v[242:243], v[2:3], v[6:7]
	v_fma_f64 v[30:31], v[28:29], s[10:11], v[16:17]
	v_fma_f64 v[16:17], v[28:29], s[2:3], v[16:17]
	v_mul_f64 v[28:29], v[30:31], s[2:3]
	v_fma_f64 v[32:33], v[16:17], s[2:3], v[32:33]
	v_mul_f64 v[16:17], v[16:17], -0.5
	v_fma_f64 v[28:29], v[20:21], 0.5, v[28:29]
	v_mul_f64 v[20:21], v[20:21], s[10:11]
	v_fma_f64 v[34:35], v[12:13], s[10:11], v[16:17]
	v_add_f64 v[250:251], v[14:15], v[32:33]
	v_add_f64 v[12:13], v[2:3], -v[6:7]
	v_add_f64 v[2:3], v[188:189], v[234:235]
	v_add_f64 v[6:7], v[236:237], -v[240:241]
	v_add_f64 v[246:247], v[18:19], v[28:29]
	v_fma_f64 v[30:31], v[30:31], 0.5, v[20:21]
	v_add_f64 v[16:17], v[18:19], -v[28:29]
	v_add_f64 v[20:21], v[14:15], -v[32:33]
	;; [unrolled: 1-line block ×4, first 2 shown]
	v_add_f64 v[252:253], v[4:5], v[34:35]
	v_add_f64 v[22:23], v[4:5], -v[34:35]
	v_add_f64 v[4:5], v[234:235], v[238:239]
	v_add_f64 v[248:249], v[24:25], v[30:31]
	v_add_f64 v[18:19], v[24:25], -v[30:31]
	v_add_f64 v[24:25], v[236:237], v[240:241]
	v_add_f64 v[2:3], v[2:3], v[238:239]
	v_fma_f64 v[4:5], v[4:5], -0.5, v[188:189]
	v_fma_f64 v[24:25], v[24:25], -0.5, v[190:191]
	v_fma_f64 v[34:35], v[6:7], s[2:3], v[4:5]
	v_fma_f64 v[4:5], v[6:7], s[10:11], v[4:5]
	v_add_f64 v[6:7], v[190:191], v[236:237]
	v_fma_f64 v[38:39], v[26:27], s[10:11], v[24:25]
	v_fma_f64 v[42:43], v[26:27], s[2:3], v[24:25]
	v_add_f64 v[24:25], v[232:233], v[222:223]
	v_add_f64 v[26:27], v[228:229], -v[230:231]
	v_add_f64 v[6:7], v[6:7], v[240:241]
	v_add_f64 v[32:33], v[24:25], v[224:225]
	;; [unrolled: 1-line block ×4, first 2 shown]
	v_fma_f64 v[24:25], v[24:25], -0.5, v[232:233]
	v_add_f64 v[232:233], v[204:205], -v[226:227]
	v_add_f64 v[32:33], v[2:3], -v[32:33]
	v_add_f64 v[2:3], v[208:209], v[200:201]
	v_fma_f64 v[30:31], v[26:27], s[2:3], v[24:25]
	v_fma_f64 v[36:37], v[26:27], s[10:11], v[24:25]
	v_add_f64 v[24:25], v[220:221], v[228:229]
	v_add_f64 v[26:27], v[222:223], -v[224:225]
	v_add_f64 v[224:225], v[218:219], -v[0:1]
	v_add_f64 v[188:189], v[24:25], v[230:231]
	v_add_f64 v[24:25], v[228:229], v[230:231]
	v_add_f64 v[238:239], v[6:7], v[188:189]
	v_fma_f64 v[24:25], v[24:25], -0.5, v[220:221]
	v_fma_f64 v[40:41], v[26:27], s[10:11], v[24:25]
	v_fma_f64 v[190:191], v[26:27], s[2:3], v[24:25]
	v_mul_f64 v[26:27], v[36:37], -0.5
	v_mul_f64 v[24:25], v[40:41], s[2:3]
	v_fma_f64 v[214:215], v[190:191], s[2:3], v[26:27]
	v_mul_f64 v[26:27], v[30:31], s[10:11]
	v_fma_f64 v[212:213], v[30:31], 0.5, v[24:25]
	v_mul_f64 v[30:31], v[190:191], -0.5
	v_add_f64 v[28:29], v[4:5], v[214:215]
	v_fma_f64 v[220:221], v[40:41], 0.5, v[26:27]
	v_add_f64 v[40:41], v[4:5], -v[214:215]
	v_fma_f64 v[4:5], v[2:3], -0.5, v[196:197]
	v_add_f64 v[214:215], v[206:207], -v[202:203]
	v_add_f64 v[24:25], v[34:35], v[212:213]
	v_fma_f64 v[190:191], v[36:37], s[10:11], v[30:31]
	v_add_f64 v[36:37], v[34:35], -v[212:213]
	v_add_f64 v[34:35], v[6:7], -v[188:189]
	v_add_f64 v[188:189], v[204:205], v[226:227]
	v_add_f64 v[6:7], v[206:207], v[202:203]
	;; [unrolled: 1-line block ×3, first 2 shown]
	v_add_f64 v[38:39], v[38:39], -v[220:221]
	v_add_f64 v[220:221], v[208:209], -v[200:201]
	v_add_f64 v[30:31], v[42:43], v[190:191]
	v_add_f64 v[42:43], v[42:43], -v[190:191]
	v_add_f64 v[190:191], v[218:219], v[0:1]
	v_fma_f64 v[222:223], v[188:189], -0.5, v[216:217]
	v_fma_f64 v[6:7], v[6:7], -0.5, v[198:199]
	v_fma_f64 v[2:3], v[214:215], s[10:11], v[4:5]
	v_fma_f64 v[230:231], v[190:191], -0.5, v[210:211]
	v_fma_f64 v[188:189], v[224:225], s[10:11], v[222:223]
	v_fma_f64 v[212:213], v[220:221], s[2:3], v[6:7]
	;; [unrolled: 1-line block ×3, first 2 shown]
	v_mul_f64 v[228:229], v[188:189], -0.5
	v_fma_f64 v[228:229], v[190:191], s[2:3], v[228:229]
	v_mul_f64 v[190:191], v[190:191], -0.5
	v_add_f64 v[44:45], v[2:3], -v[228:229]
	v_fma_f64 v[234:235], v[188:189], s[10:11], v[190:191]
	v_add_f64 v[46:47], v[212:213], -v[234:235]
	buffer_store_dword v44, off, s[64:67], 0 offset:4 ; 4-byte Folded Spill
	s_nop 0
	buffer_store_dword v45, off, s[64:67], 0 offset:8 ; 4-byte Folded Spill
	buffer_store_dword v46, off, s[64:67], 0 offset:12 ; 4-byte Folded Spill
	;; [unrolled: 1-line block ×3, first 2 shown]
	ds_write_b128 v8, v[242:245]
	ds_write_b128 v8, v[246:249] offset:4624
	ds_write_b128 v8, v[250:253] offset:9248
	;; [unrolled: 1-line block ×11, first 2 shown]
	s_and_saveexec_b64 s[10:11], s[0:1]
	s_cbranch_execz .LBB0_5
; %bb.4:
	v_mul_f64 v[12:13], v[224:225], s[2:3]
	v_mul_f64 v[14:15], v[232:233], s[2:3]
	v_add_f64 v[16:17], v[198:199], v[206:207]
	v_add_f64 v[20:21], v[196:197], v[208:209]
	;; [unrolled: 1-line block ×3, first 2 shown]
	v_mul_f64 v[24:25], v[214:215], s[2:3]
	v_mul_f64 v[26:27], v[220:221], s[2:3]
	v_add_f64 v[12:13], v[12:13], v[222:223]
	v_add_f64 v[18:19], v[230:231], -v[14:15]
	v_add_f64 v[14:15], v[210:211], v[218:219]
	v_add_f64 v[16:17], v[16:17], v[202:203]
	;; [unrolled: 1-line block ×4, first 2 shown]
	v_add_f64 v[26:27], v[6:7], -v[26:27]
	v_add_f64 v[24:25], v[24:25], v[4:5]
	v_mul_f64 v[28:29], v[12:13], s[2:3]
	v_mul_f64 v[30:31], v[18:19], s[2:3]
	v_add_f64 v[32:33], v[14:15], v[0:1]
	v_add_f64 v[14:15], v[212:213], v[234:235]
	v_add_f64 v[4:5], v[20:21], v[22:23]
	v_add_f64 v[0:1], v[20:21], -v[22:23]
	v_fma_f64 v[28:29], v[18:19], 0.5, -v[28:29]
	v_fma_f64 v[30:31], v[12:13], 0.5, v[30:31]
	v_add_f64 v[12:13], v[2:3], v[228:229]
	v_add_f64 v[6:7], v[16:17], v[32:33]
	v_add_f64 v[2:3], v[16:17], -v[32:33]
	v_add_f64 v[22:23], v[26:27], v[28:29]
	v_add_f64 v[20:21], v[24:25], v[30:31]
	v_add_f64 v[18:19], v[26:27], -v[28:29]
	v_add_f64 v[16:17], v[24:25], -v[30:31]
	ds_write_b128 v8, v[12:15] offset:12512
	ds_write_b128 v8, v[4:7] offset:3264
	;; [unrolled: 1-line block ×5, first 2 shown]
	buffer_load_dword v0, off, s[64:67], 0 offset:4 ; 4-byte Folded Reload
	buffer_load_dword v1, off, s[64:67], 0 offset:8 ; 4-byte Folded Reload
	;; [unrolled: 1-line block ×4, first 2 shown]
	s_waitcnt vmcnt(0)
	ds_write_b128 v8, v[0:3] offset:26384
.LBB0_5:
	s_or_b64 exec, exec, s[10:11]
	v_mov_b32_e32 v0, s9
	v_addc_co_u32_e32 v0, vcc, 0, v0, vcc
	s_movk_i32 s2, 0x6c60
	v_add_co_u32_e32 v5, vcc, s2, v10
	v_addc_co_u32_e32 v6, vcc, 0, v0, vcc
	s_movk_i32 s2, 0x6000
	v_add_co_u32_e32 v12, vcc, s2, v10
	v_addc_co_u32_e32 v13, vcc, 0, v0, vcc
	s_waitcnt vmcnt(0) lgkmcnt(0)
	s_barrier
	global_load_dwordx4 v[12:15], v[12:13], off offset:3168
	ds_read_b128 v[1:4], v8
	s_movk_i32 s2, 0x7000
	s_mov_b32 s36, 0x370991
	s_mov_b32 s24, 0x75d4884
	;; [unrolled: 1-line block ×45, first 2 shown]
	s_waitcnt vmcnt(0) lgkmcnt(0)
	v_mul_f64 v[16:17], v[3:4], v[14:15]
	v_fma_f64 v[16:17], v[1:2], v[12:13], -v[16:17]
	v_mul_f64 v[1:2], v[1:2], v[14:15]
	v_fma_f64 v[18:19], v[3:4], v[12:13], v[1:2]
	global_load_dwordx4 v[12:15], v[5:6], off offset:1632
	ds_read_b128 v[1:4], v8 offset:1632
	ds_write_b128 v8, v[16:19]
	s_waitcnt vmcnt(0) lgkmcnt(1)
	v_mul_f64 v[16:17], v[3:4], v[14:15]
	v_fma_f64 v[16:17], v[1:2], v[12:13], -v[16:17]
	v_mul_f64 v[1:2], v[1:2], v[14:15]
	v_fma_f64 v[18:19], v[3:4], v[12:13], v[1:2]
	global_load_dwordx4 v[12:15], v[5:6], off offset:3264
	ds_read_b128 v[1:4], v8 offset:3264
	ds_write_b128 v8, v[16:19] offset:1632
	s_waitcnt vmcnt(0) lgkmcnt(1)
	v_mul_f64 v[5:6], v[3:4], v[14:15]
	v_fma_f64 v[16:17], v[1:2], v[12:13], -v[5:6]
	v_mul_f64 v[1:2], v[1:2], v[14:15]
	v_add_co_u32_e32 v5, vcc, s2, v10
	v_addc_co_u32_e32 v6, vcc, 0, v0, vcc
	s_mov_b32 s2, 0x8000
	v_fma_f64 v[18:19], v[3:4], v[12:13], v[1:2]
	global_load_dwordx4 v[12:15], v[5:6], off offset:3968
	ds_read_b128 v[1:4], v8 offset:4896
	ds_write_b128 v8, v[16:19] offset:3264
	s_waitcnt vmcnt(0) lgkmcnt(1)
	v_mul_f64 v[5:6], v[3:4], v[14:15]
	v_fma_f64 v[16:17], v[1:2], v[12:13], -v[5:6]
	v_mul_f64 v[1:2], v[1:2], v[14:15]
	v_add_co_u32_e32 v5, vcc, s2, v10
	v_addc_co_u32_e32 v6, vcc, 0, v0, vcc
	s_mov_b32 s2, 0x9000
	v_fma_f64 v[18:19], v[3:4], v[12:13], v[1:2]
	global_load_dwordx4 v[12:15], v[5:6], off offset:1504
	ds_read_b128 v[1:4], v8 offset:6528
	ds_write_b128 v8, v[16:19] offset:4896
	s_waitcnt vmcnt(0) lgkmcnt(1)
	v_mul_f64 v[16:17], v[3:4], v[14:15]
	v_fma_f64 v[16:17], v[1:2], v[12:13], -v[16:17]
	v_mul_f64 v[1:2], v[1:2], v[14:15]
	v_fma_f64 v[18:19], v[3:4], v[12:13], v[1:2]
	global_load_dwordx4 v[12:15], v[5:6], off offset:3136
	ds_read_b128 v[1:4], v8 offset:8160
	ds_write_b128 v8, v[16:19] offset:6528
	s_waitcnt vmcnt(0) lgkmcnt(1)
	v_mul_f64 v[5:6], v[3:4], v[14:15]
	v_fma_f64 v[16:17], v[1:2], v[12:13], -v[5:6]
	v_mul_f64 v[1:2], v[1:2], v[14:15]
	v_add_co_u32_e32 v5, vcc, s2, v10
	v_addc_co_u32_e32 v6, vcc, 0, v0, vcc
	s_mov_b32 s2, 0xa000
	v_fma_f64 v[18:19], v[3:4], v[12:13], v[1:2]
	global_load_dwordx4 v[12:15], v[5:6], off offset:672
	ds_read_b128 v[1:4], v8 offset:9792
	ds_write_b128 v8, v[16:19] offset:8160
	s_waitcnt vmcnt(0) lgkmcnt(1)
	v_mul_f64 v[16:17], v[3:4], v[14:15]
	v_fma_f64 v[16:17], v[1:2], v[12:13], -v[16:17]
	v_mul_f64 v[1:2], v[1:2], v[14:15]
	v_fma_f64 v[18:19], v[3:4], v[12:13], v[1:2]
	global_load_dwordx4 v[12:15], v[5:6], off offset:2304
	ds_read_b128 v[1:4], v8 offset:11424
	ds_write_b128 v8, v[16:19] offset:9792
	s_waitcnt vmcnt(0) lgkmcnt(1)
	v_mul_f64 v[16:17], v[3:4], v[14:15]
	v_fma_f64 v[16:17], v[1:2], v[12:13], -v[16:17]
	v_mul_f64 v[1:2], v[1:2], v[14:15]
	;; [unrolled: 8-line block ×3, first 2 shown]
	v_add_co_u32_e32 v5, vcc, s2, v10
	v_addc_co_u32_e32 v6, vcc, 0, v0, vcc
	s_mov_b32 s2, 0xb000
	v_fma_f64 v[18:19], v[3:4], v[12:13], v[1:2]
	global_load_dwordx4 v[12:15], v[5:6], off offset:1472
	ds_read_b128 v[1:4], v8 offset:14688
	ds_write_b128 v8, v[16:19] offset:13056
	s_waitcnt vmcnt(0) lgkmcnt(1)
	v_mul_f64 v[16:17], v[3:4], v[14:15]
	v_fma_f64 v[16:17], v[1:2], v[12:13], -v[16:17]
	v_mul_f64 v[1:2], v[1:2], v[14:15]
	v_fma_f64 v[18:19], v[3:4], v[12:13], v[1:2]
	global_load_dwordx4 v[12:15], v[5:6], off offset:3104
	ds_read_b128 v[1:4], v8 offset:16320
	ds_write_b128 v8, v[16:19] offset:14688
	s_waitcnt vmcnt(0) lgkmcnt(1)
	v_mul_f64 v[5:6], v[3:4], v[14:15]
	v_fma_f64 v[16:17], v[1:2], v[12:13], -v[5:6]
	v_mul_f64 v[1:2], v[1:2], v[14:15]
	v_add_co_u32_e32 v5, vcc, s2, v10
	v_addc_co_u32_e32 v6, vcc, 0, v0, vcc
	s_mov_b32 s2, 0xc000
	v_fma_f64 v[18:19], v[3:4], v[12:13], v[1:2]
	global_load_dwordx4 v[12:15], v[5:6], off offset:640
	ds_read_b128 v[1:4], v8 offset:17952
	ds_write_b128 v8, v[16:19] offset:16320
	s_waitcnt vmcnt(0) lgkmcnt(1)
	v_mul_f64 v[16:17], v[3:4], v[14:15]
	v_fma_f64 v[16:17], v[1:2], v[12:13], -v[16:17]
	v_mul_f64 v[1:2], v[1:2], v[14:15]
	v_fma_f64 v[18:19], v[3:4], v[12:13], v[1:2]
	global_load_dwordx4 v[12:15], v[5:6], off offset:2272
	ds_read_b128 v[1:4], v8 offset:19584
	ds_write_b128 v8, v[16:19] offset:17952
	s_waitcnt vmcnt(0) lgkmcnt(1)
	v_mul_f64 v[16:17], v[3:4], v[14:15]
	v_fma_f64 v[16:17], v[1:2], v[12:13], -v[16:17]
	v_mul_f64 v[1:2], v[1:2], v[14:15]
	v_fma_f64 v[18:19], v[3:4], v[12:13], v[1:2]
	global_load_dwordx4 v[12:15], v[5:6], off offset:3904
	ds_read_b128 v[1:4], v8 offset:21216
	ds_write_b128 v8, v[16:19] offset:19584
	s_waitcnt vmcnt(0) lgkmcnt(1)
	v_mul_f64 v[5:6], v[3:4], v[14:15]
	v_fma_f64 v[16:17], v[1:2], v[12:13], -v[5:6]
	v_mul_f64 v[1:2], v[1:2], v[14:15]
	v_add_co_u32_e32 v5, vcc, s2, v10
	v_addc_co_u32_e32 v6, vcc, 0, v0, vcc
	s_mov_b32 s2, 0xd000
	v_fma_f64 v[18:19], v[3:4], v[12:13], v[1:2]
	global_load_dwordx4 v[12:15], v[5:6], off offset:1440
	ds_read_b128 v[1:4], v8 offset:22848
	ds_write_b128 v8, v[16:19] offset:21216
	s_waitcnt vmcnt(0) lgkmcnt(1)
	v_mul_f64 v[16:17], v[3:4], v[14:15]
	v_fma_f64 v[16:17], v[1:2], v[12:13], -v[16:17]
	v_mul_f64 v[1:2], v[1:2], v[14:15]
	v_fma_f64 v[18:19], v[3:4], v[12:13], v[1:2]
	global_load_dwordx4 v[12:15], v[5:6], off offset:3072
	ds_read_b128 v[1:4], v8 offset:24480
	ds_write_b128 v8, v[16:19] offset:22848
	s_waitcnt vmcnt(0) lgkmcnt(1)
	v_mul_f64 v[5:6], v[3:4], v[14:15]
	v_fma_f64 v[16:17], v[1:2], v[12:13], -v[5:6]
	v_mul_f64 v[1:2], v[1:2], v[14:15]
	v_add_co_u32_e32 v5, vcc, s2, v10
	v_addc_co_u32_e32 v6, vcc, 0, v0, vcc
	s_mov_b32 s2, 0xeb564b22
	s_mov_b32 s3, 0xbfefdd0d
	;; [unrolled: 1-line block ×3, first 2 shown]
	v_fma_f64 v[18:19], v[3:4], v[12:13], v[1:2]
	global_load_dwordx4 v[12:15], v[5:6], off offset:608
	ds_read_b128 v[1:4], v8 offset:26112
	ds_write_b128 v8, v[16:19] offset:24480
	s_waitcnt vmcnt(0) lgkmcnt(1)
	v_mul_f64 v[5:6], v[3:4], v[14:15]
	v_fma_f64 v[16:17], v[1:2], v[12:13], -v[5:6]
	v_mul_f64 v[0:1], v[1:2], v[14:15]
	v_fma_f64 v[18:19], v[3:4], v[12:13], v[0:1]
	ds_write_b128 v8, v[16:19] offset:26112
	s_waitcnt lgkmcnt(0)
	s_barrier
	ds_read_b128 v[0:3], v8
	ds_read_b128 v[4:7], v8 offset:1632
	ds_read_b128 v[248:251], v8 offset:3264
	;; [unrolled: 1-line block ×16, first 2 shown]
	s_waitcnt lgkmcnt(14)
	v_add_f64 v[16:17], v[0:1], v[4:5]
	v_add_f64 v[18:19], v[2:3], v[6:7]
	;; [unrolled: 1-line block ×4, first 2 shown]
	s_waitcnt lgkmcnt(13)
	v_add_f64 v[16:17], v[16:17], v[240:241]
	v_add_f64 v[18:19], v[18:19], v[242:243]
	s_waitcnt lgkmcnt(12)
	v_add_f64 v[16:17], v[16:17], v[232:233]
	v_add_f64 v[18:19], v[18:19], v[234:235]
	s_waitcnt lgkmcnt(11)
	v_add_f64 v[16:17], v[16:17], v[224:225]
	v_add_f64 v[18:19], v[18:19], v[226:227]
	s_waitcnt lgkmcnt(10)
	v_add_f64 v[16:17], v[16:17], v[216:217]
	v_add_f64 v[18:19], v[18:19], v[218:219]
	s_waitcnt lgkmcnt(9)
	v_add_f64 v[16:17], v[16:17], v[208:209]
	v_add_f64 v[18:19], v[18:19], v[210:211]
	s_waitcnt lgkmcnt(8)
	v_add_f64 v[16:17], v[16:17], v[200:201]
	v_add_f64 v[18:19], v[18:19], v[202:203]
	s_waitcnt lgkmcnt(7)
	v_add_f64 v[16:17], v[16:17], v[204:205]
	v_add_f64 v[18:19], v[18:19], v[206:207]
	s_waitcnt lgkmcnt(6)
	v_add_f64 v[16:17], v[16:17], v[212:213]
	v_add_f64 v[18:19], v[18:19], v[214:215]
	s_waitcnt lgkmcnt(5)
	v_add_f64 v[16:17], v[16:17], v[220:221]
	v_add_f64 v[18:19], v[18:19], v[222:223]
	s_waitcnt lgkmcnt(4)
	v_add_f64 v[16:17], v[16:17], v[228:229]
	v_add_f64 v[18:19], v[18:19], v[230:231]
	s_waitcnt lgkmcnt(3)
	v_add_f64 v[16:17], v[16:17], v[236:237]
	v_add_f64 v[18:19], v[18:19], v[238:239]
	s_waitcnt lgkmcnt(2)
	v_add_f64 v[16:17], v[16:17], v[244:245]
	v_add_f64 v[18:19], v[18:19], v[246:247]
	s_waitcnt lgkmcnt(1)
	v_add_f64 v[16:17], v[16:17], v[252:253]
	v_add_f64 v[18:19], v[18:19], v[254:255]
	s_waitcnt lgkmcnt(0)
	v_add_f64 v[16:17], v[16:17], v[12:13]
	v_add_f64 v[18:19], v[18:19], v[14:15]
	buffer_store_dword v16, off, s[64:67], 0 offset:300 ; 4-byte Folded Spill
	s_nop 0
	buffer_store_dword v17, off, s[64:67], 0 offset:304 ; 4-byte Folded Spill
	buffer_store_dword v18, off, s[64:67], 0 offset:308 ; 4-byte Folded Spill
	;; [unrolled: 1-line block ×3, first 2 shown]
	v_add_f64 v[18:19], v[6:7], v[14:15]
	v_add_f64 v[16:17], v[4:5], v[12:13]
	v_add_f64 v[4:5], v[4:5], -v[12:13]
	v_add_f64 v[6:7], v[6:7], -v[14:15]
	s_waitcnt vmcnt(0)
	s_barrier
	v_mul_f64 v[20:21], v[18:19], s[36:37]
	v_mul_f64 v[28:29], v[18:19], s[24:25]
	;; [unrolled: 1-line block ×9, first 2 shown]
	v_fma_f64 v[22:23], v[4:5], s[38:39], v[20:21]
	v_fma_f64 v[20:21], v[4:5], s[34:35], v[20:21]
	v_mul_f64 v[24:25], v[6:7], s[20:21]
	v_fma_f64 v[30:31], v[4:5], s[28:29], v[28:29]
	v_fma_f64 v[28:29], v[4:5], s[20:21], v[28:29]
	v_mul_f64 v[32:33], v[6:7], s[14:15]
	;; [unrolled: 3-line block ×7, first 2 shown]
	v_fma_f64 v[198:199], v[4:5], s[56:57], v[18:19]
	v_fma_f64 v[4:5], v[4:5], s[52:53], v[18:19]
	v_add_f64 v[18:19], v[250:251], -v[254:255]
	v_fma_f64 v[14:15], v[16:17], s[36:37], v[12:13]
	v_add_f64 v[22:23], v[2:3], v[22:23]
	v_fma_f64 v[12:13], v[16:17], s[36:37], -v[12:13]
	v_add_f64 v[20:21], v[2:3], v[20:21]
	v_fma_f64 v[26:27], v[16:17], s[24:25], v[24:25]
	v_add_f64 v[30:31], v[2:3], v[30:31]
	v_fma_f64 v[24:25], v[16:17], s[24:25], -v[24:25]
	v_add_f64 v[28:29], v[2:3], v[28:29]
	;; [unrolled: 4-line block ×8, first 2 shown]
	v_add_f64 v[4:5], v[248:249], v[252:253]
	v_add_f64 v[16:17], v[248:249], -v[252:253]
	v_mul_f64 v[248:249], v[18:19], s[20:21]
	v_add_f64 v[14:15], v[0:1], v[14:15]
	v_add_f64 v[12:13], v[0:1], v[12:13]
	;; [unrolled: 1-line block ×17, first 2 shown]
	v_fma_f64 v[250:251], v[4:5], s[24:25], v[248:249]
	v_fma_f64 v[248:249], v[4:5], s[24:25], -v[248:249]
	v_add_f64 v[14:15], v[250:251], v[14:15]
	v_mul_f64 v[250:251], v[6:7], s[24:25]
	v_add_f64 v[12:13], v[248:249], v[12:13]
	v_fma_f64 v[248:249], v[16:17], s[20:21], v[250:251]
	v_fma_f64 v[252:253], v[16:17], s[28:29], v[250:251]
	v_add_f64 v[20:21], v[248:249], v[20:21]
	v_mul_f64 v[248:249], v[18:19], s[2:3]
	v_add_f64 v[22:23], v[252:253], v[22:23]
	v_fma_f64 v[250:251], v[4:5], s[8:9], v[248:249]
	v_fma_f64 v[248:249], v[4:5], s[8:9], -v[248:249]
	v_add_f64 v[26:27], v[250:251], v[26:27]
	v_mul_f64 v[250:251], v[6:7], s[8:9]
	v_add_f64 v[24:25], v[248:249], v[24:25]
	v_fma_f64 v[248:249], v[16:17], s[2:3], v[250:251]
	v_fma_f64 v[252:253], v[16:17], s[10:11], v[250:251]
	v_add_f64 v[28:29], v[248:249], v[28:29]
	v_mul_f64 v[248:249], v[18:19], s[40:41]
	v_add_f64 v[30:31], v[252:253], v[30:31]
	;; [unrolled: 10-line block ×5, first 2 shown]
	v_fma_f64 v[250:251], v[4:5], s[26:27], v[248:249]
	v_fma_f64 v[248:249], v[4:5], s[26:27], -v[248:249]
	v_add_f64 v[58:59], v[250:251], v[58:59]
	v_mul_f64 v[250:251], v[6:7], s[26:27]
	v_add_f64 v[56:57], v[248:249], v[56:57]
	v_fma_f64 v[248:249], v[16:17], s[30:31], v[250:251]
	v_fma_f64 v[252:253], v[16:17], s[22:23], v[250:251]
	v_add_f64 v[60:61], v[248:249], v[60:61]
	v_mul_f64 v[248:249], v[18:19], s[18:19]
	v_mul_f64 v[18:19], v[18:19], s[38:39]
	v_add_f64 v[62:63], v[252:253], v[62:63]
	v_fma_f64 v[250:251], v[4:5], s[12:13], v[248:249]
	v_fma_f64 v[248:249], v[4:5], s[12:13], -v[248:249]
	v_add_f64 v[66:67], v[250:251], v[66:67]
	v_mul_f64 v[250:251], v[6:7], s[12:13]
	v_add_f64 v[64:65], v[248:249], v[64:65]
	v_mul_f64 v[6:7], v[6:7], s[36:37]
	v_fma_f64 v[248:249], v[16:17], s[18:19], v[250:251]
	v_fma_f64 v[252:253], v[16:17], s[14:15], v[250:251]
	v_add_f64 v[188:189], v[248:249], v[188:189]
	v_fma_f64 v[248:249], v[4:5], s[36:37], v[18:19]
	v_fma_f64 v[4:5], v[4:5], s[36:37], -v[18:19]
	v_add_f64 v[18:19], v[242:243], -v[246:247]
	v_add_f64 v[190:191], v[252:253], v[190:191]
	v_add_f64 v[196:197], v[248:249], v[196:197]
	;; [unrolled: 1-line block ×3, first 2 shown]
	v_fma_f64 v[4:5], v[16:17], s[38:39], v[6:7]
	v_fma_f64 v[248:249], v[16:17], s[34:35], v[6:7]
	v_add_f64 v[16:17], v[240:241], -v[244:245]
	v_add_f64 v[6:7], v[242:243], v[246:247]
	v_add_f64 v[2:3], v[4:5], v[2:3]
	;; [unrolled: 1-line block ×3, first 2 shown]
	v_mul_f64 v[240:241], v[18:19], s[14:15]
	v_add_f64 v[198:199], v[248:249], v[198:199]
	v_fma_f64 v[242:243], v[4:5], s[12:13], v[240:241]
	v_fma_f64 v[240:241], v[4:5], s[12:13], -v[240:241]
	v_add_f64 v[14:15], v[242:243], v[14:15]
	v_mul_f64 v[242:243], v[6:7], s[12:13]
	v_add_f64 v[12:13], v[240:241], v[12:13]
	v_fma_f64 v[240:241], v[16:17], s[14:15], v[242:243]
	v_fma_f64 v[244:245], v[16:17], s[18:19], v[242:243]
	v_add_f64 v[20:21], v[240:241], v[20:21]
	v_mul_f64 v[240:241], v[18:19], s[40:41]
	v_add_f64 v[22:23], v[244:245], v[22:23]
	v_fma_f64 v[242:243], v[4:5], s[42:43], v[240:241]
	v_fma_f64 v[240:241], v[4:5], s[42:43], -v[240:241]
	v_add_f64 v[26:27], v[242:243], v[26:27]
	v_mul_f64 v[242:243], v[6:7], s[42:43]
	v_add_f64 v[24:25], v[240:241], v[24:25]
	v_fma_f64 v[240:241], v[16:17], s[40:41], v[242:243]
	v_fma_f64 v[244:245], v[16:17], s[44:45], v[242:243]
	v_add_f64 v[28:29], v[240:241], v[28:29]
	;; [unrolled: 10-line block ×6, first 2 shown]
	v_mul_f64 v[240:241], v[18:19], s[2:3]
	v_mul_f64 v[18:19], v[18:19], s[46:47]
	v_add_f64 v[62:63], v[244:245], v[62:63]
	v_fma_f64 v[242:243], v[4:5], s[8:9], v[240:241]
	v_fma_f64 v[240:241], v[4:5], s[8:9], -v[240:241]
	v_add_f64 v[66:67], v[242:243], v[66:67]
	v_mul_f64 v[242:243], v[6:7], s[8:9]
	v_add_f64 v[64:65], v[240:241], v[64:65]
	v_mul_f64 v[6:7], v[6:7], s[48:49]
	v_fma_f64 v[240:241], v[16:17], s[2:3], v[242:243]
	v_fma_f64 v[244:245], v[16:17], s[10:11], v[242:243]
	v_add_f64 v[188:189], v[240:241], v[188:189]
	v_fma_f64 v[240:241], v[4:5], s[48:49], v[18:19]
	v_fma_f64 v[4:5], v[4:5], s[48:49], -v[18:19]
	v_add_f64 v[18:19], v[234:235], -v[238:239]
	v_add_f64 v[190:191], v[244:245], v[190:191]
	v_add_f64 v[196:197], v[240:241], v[196:197]
	;; [unrolled: 1-line block ×3, first 2 shown]
	v_fma_f64 v[4:5], v[16:17], s[46:47], v[6:7]
	v_fma_f64 v[240:241], v[16:17], s[50:51], v[6:7]
	v_add_f64 v[16:17], v[232:233], -v[236:237]
	v_add_f64 v[6:7], v[234:235], v[238:239]
	v_add_f64 v[2:3], v[4:5], v[2:3]
	v_add_f64 v[4:5], v[232:233], v[236:237]
	v_mul_f64 v[232:233], v[18:19], s[2:3]
	v_add_f64 v[198:199], v[240:241], v[198:199]
	v_fma_f64 v[234:235], v[4:5], s[8:9], v[232:233]
	v_fma_f64 v[232:233], v[4:5], s[8:9], -v[232:233]
	v_add_f64 v[14:15], v[234:235], v[14:15]
	v_mul_f64 v[234:235], v[6:7], s[8:9]
	v_add_f64 v[12:13], v[232:233], v[12:13]
	v_fma_f64 v[232:233], v[16:17], s[2:3], v[234:235]
	v_fma_f64 v[236:237], v[16:17], s[10:11], v[234:235]
	v_add_f64 v[20:21], v[232:233], v[20:21]
	v_mul_f64 v[232:233], v[18:19], s[52:53]
	v_add_f64 v[22:23], v[236:237], v[22:23]
	v_fma_f64 v[234:235], v[4:5], s[54:55], v[232:233]
	v_fma_f64 v[232:233], v[4:5], s[54:55], -v[232:233]
	v_add_f64 v[26:27], v[234:235], v[26:27]
	v_mul_f64 v[234:235], v[6:7], s[54:55]
	v_add_f64 v[24:25], v[232:233], v[24:25]
	v_fma_f64 v[232:233], v[16:17], s[52:53], v[234:235]
	v_fma_f64 v[236:237], v[16:17], s[56:57], v[234:235]
	v_add_f64 v[28:29], v[232:233], v[28:29]
	;; [unrolled: 10-line block ×6, first 2 shown]
	v_mul_f64 v[232:233], v[18:19], s[44:45]
	v_mul_f64 v[18:19], v[18:19], s[28:29]
	v_add_f64 v[62:63], v[236:237], v[62:63]
	v_fma_f64 v[234:235], v[4:5], s[42:43], v[232:233]
	v_fma_f64 v[232:233], v[4:5], s[42:43], -v[232:233]
	v_add_f64 v[66:67], v[234:235], v[66:67]
	v_mul_f64 v[234:235], v[6:7], s[42:43]
	v_add_f64 v[64:65], v[232:233], v[64:65]
	v_mul_f64 v[6:7], v[6:7], s[24:25]
	v_fma_f64 v[232:233], v[16:17], s[44:45], v[234:235]
	v_fma_f64 v[236:237], v[16:17], s[40:41], v[234:235]
	v_add_f64 v[188:189], v[232:233], v[188:189]
	v_fma_f64 v[232:233], v[4:5], s[24:25], v[18:19]
	v_fma_f64 v[4:5], v[4:5], s[24:25], -v[18:19]
	v_add_f64 v[18:19], v[226:227], -v[230:231]
	v_add_f64 v[190:191], v[236:237], v[190:191]
	v_add_f64 v[196:197], v[232:233], v[196:197]
	;; [unrolled: 1-line block ×3, first 2 shown]
	v_fma_f64 v[4:5], v[16:17], s[28:29], v[6:7]
	v_fma_f64 v[232:233], v[16:17], s[20:21], v[6:7]
	v_add_f64 v[16:17], v[224:225], -v[228:229]
	v_add_f64 v[6:7], v[226:227], v[230:231]
	v_add_f64 v[2:3], v[4:5], v[2:3]
	;; [unrolled: 1-line block ×3, first 2 shown]
	v_mul_f64 v[224:225], v[18:19], s[22:23]
	v_add_f64 v[198:199], v[232:233], v[198:199]
	v_fma_f64 v[226:227], v[4:5], s[26:27], v[224:225]
	v_fma_f64 v[224:225], v[4:5], s[26:27], -v[224:225]
	v_add_f64 v[14:15], v[226:227], v[14:15]
	v_mul_f64 v[226:227], v[6:7], s[26:27]
	v_add_f64 v[12:13], v[224:225], v[12:13]
	v_fma_f64 v[224:225], v[16:17], s[22:23], v[226:227]
	v_fma_f64 v[228:229], v[16:17], s[30:31], v[226:227]
	v_add_f64 v[20:21], v[224:225], v[20:21]
	v_mul_f64 v[224:225], v[18:19], s[50:51]
	v_add_f64 v[22:23], v[228:229], v[22:23]
	v_fma_f64 v[226:227], v[4:5], s[48:49], v[224:225]
	v_fma_f64 v[224:225], v[4:5], s[48:49], -v[224:225]
	v_add_f64 v[26:27], v[226:227], v[26:27]
	v_mul_f64 v[226:227], v[6:7], s[48:49]
	v_add_f64 v[24:25], v[224:225], v[24:25]
	v_fma_f64 v[224:225], v[16:17], s[50:51], v[226:227]
	v_fma_f64 v[228:229], v[16:17], s[46:47], v[226:227]
	v_add_f64 v[28:29], v[224:225], v[28:29]
	;; [unrolled: 10-line block ×6, first 2 shown]
	v_mul_f64 v[224:225], v[18:19], s[34:35]
	v_mul_f64 v[18:19], v[18:19], s[40:41]
	v_add_f64 v[62:63], v[228:229], v[62:63]
	v_fma_f64 v[226:227], v[4:5], s[36:37], v[224:225]
	v_fma_f64 v[224:225], v[4:5], s[36:37], -v[224:225]
	v_add_f64 v[66:67], v[226:227], v[66:67]
	v_mul_f64 v[226:227], v[6:7], s[36:37]
	v_add_f64 v[64:65], v[224:225], v[64:65]
	v_mul_f64 v[6:7], v[6:7], s[42:43]
	v_fma_f64 v[224:225], v[16:17], s[34:35], v[226:227]
	v_fma_f64 v[228:229], v[16:17], s[38:39], v[226:227]
	v_add_f64 v[226:227], v[200:201], -v[204:205]
	v_add_f64 v[188:189], v[224:225], v[188:189]
	v_fma_f64 v[224:225], v[4:5], s[42:43], v[18:19]
	v_fma_f64 v[4:5], v[4:5], s[42:43], -v[18:19]
	v_add_f64 v[18:19], v[218:219], -v[222:223]
	v_add_f64 v[190:191], v[228:229], v[190:191]
	v_add_f64 v[196:197], v[224:225], v[196:197]
	;; [unrolled: 1-line block ×3, first 2 shown]
	v_fma_f64 v[4:5], v[16:17], s[40:41], v[6:7]
	v_fma_f64 v[224:225], v[16:17], s[44:45], v[6:7]
	v_add_f64 v[16:17], v[216:217], -v[220:221]
	v_add_f64 v[6:7], v[218:219], v[222:223]
	v_add_f64 v[2:3], v[4:5], v[2:3]
	;; [unrolled: 1-line block ×3, first 2 shown]
	v_mul_f64 v[216:217], v[18:19], s[40:41]
	v_add_f64 v[198:199], v[224:225], v[198:199]
	v_add_f64 v[224:225], v[200:201], v[204:205]
	v_fma_f64 v[218:219], v[4:5], s[42:43], v[216:217]
	v_fma_f64 v[216:217], v[4:5], s[42:43], -v[216:217]
	v_add_f64 v[14:15], v[218:219], v[14:15]
	v_mul_f64 v[218:219], v[6:7], s[42:43]
	v_add_f64 v[12:13], v[216:217], v[12:13]
	v_fma_f64 v[216:217], v[16:17], s[40:41], v[218:219]
	v_fma_f64 v[220:221], v[16:17], s[44:45], v[218:219]
	v_add_f64 v[20:21], v[216:217], v[20:21]
	v_mul_f64 v[216:217], v[18:19], s[30:31]
	v_add_f64 v[22:23], v[220:221], v[22:23]
	v_fma_f64 v[218:219], v[4:5], s[26:27], v[216:217]
	v_fma_f64 v[216:217], v[4:5], s[26:27], -v[216:217]
	v_add_f64 v[26:27], v[218:219], v[26:27]
	v_mul_f64 v[218:219], v[6:7], s[26:27]
	v_add_f64 v[24:25], v[216:217], v[24:25]
	v_fma_f64 v[216:217], v[16:17], s[30:31], v[218:219]
	v_fma_f64 v[220:221], v[16:17], s[22:23], v[218:219]
	v_add_f64 v[28:29], v[216:217], v[28:29]
	v_mul_f64 v[216:217], v[18:19], s[34:35]
	;; [unrolled: 10-line block ×6, first 2 shown]
	v_mul_f64 v[18:19], v[18:19], s[18:19]
	v_add_f64 v[62:63], v[220:221], v[62:63]
	v_fma_f64 v[218:219], v[4:5], s[54:55], v[216:217]
	v_fma_f64 v[216:217], v[4:5], s[54:55], -v[216:217]
	v_add_f64 v[66:67], v[218:219], v[66:67]
	v_mul_f64 v[218:219], v[6:7], s[54:55]
	v_add_f64 v[64:65], v[216:217], v[64:65]
	v_mul_f64 v[6:7], v[6:7], s[12:13]
	v_fma_f64 v[216:217], v[16:17], s[52:53], v[218:219]
	v_fma_f64 v[220:221], v[16:17], s[56:57], v[218:219]
	v_add_f64 v[218:219], v[202:203], v[206:207]
	v_add_f64 v[188:189], v[216:217], v[188:189]
	v_fma_f64 v[216:217], v[4:5], s[12:13], v[18:19]
	v_fma_f64 v[4:5], v[4:5], s[12:13], -v[18:19]
	v_add_f64 v[18:19], v[210:211], -v[214:215]
	v_add_f64 v[190:191], v[220:221], v[190:191]
	v_add_f64 v[196:197], v[216:217], v[196:197]
	;; [unrolled: 1-line block ×3, first 2 shown]
	v_fma_f64 v[4:5], v[16:17], s[18:19], v[6:7]
	v_fma_f64 v[216:217], v[16:17], s[14:15], v[6:7]
	v_add_f64 v[16:17], v[208:209], -v[212:213]
	v_add_f64 v[6:7], v[210:211], v[214:215]
	v_add_f64 v[2:3], v[4:5], v[2:3]
	v_add_f64 v[4:5], v[208:209], v[212:213]
	v_mul_f64 v[208:209], v[18:19], s[46:47]
	v_add_f64 v[198:199], v[216:217], v[198:199]
	v_add_f64 v[216:217], v[202:203], -v[206:207]
	v_fma_f64 v[210:211], v[4:5], s[48:49], v[208:209]
	v_fma_f64 v[208:209], v[4:5], s[48:49], -v[208:209]
	v_add_f64 v[14:15], v[210:211], v[14:15]
	v_mul_f64 v[210:211], v[6:7], s[48:49]
	v_add_f64 v[12:13], v[208:209], v[12:13]
	v_fma_f64 v[208:209], v[16:17], s[46:47], v[210:211]
	v_fma_f64 v[212:213], v[16:17], s[50:51], v[210:211]
	v_add_f64 v[20:21], v[208:209], v[20:21]
	v_mul_f64 v[208:209], v[18:19], s[18:19]
	v_add_f64 v[22:23], v[212:213], v[22:23]
	v_fma_f64 v[210:211], v[4:5], s[12:13], v[208:209]
	v_fma_f64 v[208:209], v[4:5], s[12:13], -v[208:209]
	v_add_f64 v[26:27], v[210:211], v[26:27]
	v_mul_f64 v[210:211], v[6:7], s[12:13]
	v_add_f64 v[24:25], v[208:209], v[24:25]
	v_fma_f64 v[208:209], v[16:17], s[18:19], v[210:211]
	v_fma_f64 v[212:213], v[16:17], s[14:15], v[210:211]
	v_add_f64 v[28:29], v[208:209], v[28:29]
	v_mul_f64 v[208:209], v[18:19], s[2:3]
	v_add_f64 v[30:31], v[212:213], v[30:31]
	v_fma_f64 v[210:211], v[4:5], s[8:9], v[208:209]
	v_fma_f64 v[208:209], v[4:5], s[8:9], -v[208:209]
	v_add_f64 v[34:35], v[210:211], v[34:35]
	v_mul_f64 v[210:211], v[6:7], s[8:9]
	v_add_f64 v[32:33], v[208:209], v[32:33]
	v_fma_f64 v[208:209], v[16:17], s[2:3], v[210:211]
	v_fma_f64 v[212:213], v[16:17], s[10:11], v[210:211]
	v_add_f64 v[36:37], v[208:209], v[36:37]
	v_mul_f64 v[208:209], v[18:19], s[44:45]
	v_add_f64 v[38:39], v[212:213], v[38:39]
	v_fma_f64 v[210:211], v[4:5], s[42:43], v[208:209]
	v_fma_f64 v[208:209], v[4:5], s[42:43], -v[208:209]
	v_add_f64 v[42:43], v[210:211], v[42:43]
	v_mul_f64 v[210:211], v[6:7], s[42:43]
	v_add_f64 v[40:41], v[208:209], v[40:41]
	v_fma_f64 v[208:209], v[16:17], s[44:45], v[210:211]
	v_fma_f64 v[212:213], v[16:17], s[40:41], v[210:211]
	v_add_f64 v[44:45], v[208:209], v[44:45]
	v_mul_f64 v[208:209], v[18:19], s[34:35]
	v_add_f64 v[46:47], v[212:213], v[46:47]
	v_fma_f64 v[210:211], v[4:5], s[36:37], v[208:209]
	v_fma_f64 v[208:209], v[4:5], s[36:37], -v[208:209]
	v_add_f64 v[50:51], v[210:211], v[50:51]
	v_mul_f64 v[210:211], v[6:7], s[36:37]
	v_add_f64 v[48:49], v[208:209], v[48:49]
	v_fma_f64 v[208:209], v[16:17], s[34:35], v[210:211]
	v_fma_f64 v[212:213], v[16:17], s[38:39], v[210:211]
	v_add_f64 v[52:53], v[208:209], v[52:53]
	v_mul_f64 v[208:209], v[18:19], s[52:53]
	v_add_f64 v[54:55], v[212:213], v[54:55]
	v_fma_f64 v[210:211], v[4:5], s[54:55], v[208:209]
	v_fma_f64 v[208:209], v[4:5], s[54:55], -v[208:209]
	v_add_f64 v[58:59], v[210:211], v[58:59]
	v_mul_f64 v[210:211], v[6:7], s[54:55]
	v_add_f64 v[56:57], v[208:209], v[56:57]
	v_fma_f64 v[208:209], v[16:17], s[52:53], v[210:211]
	v_fma_f64 v[212:213], v[16:17], s[56:57], v[210:211]
	v_add_f64 v[60:61], v[208:209], v[60:61]
	v_mul_f64 v[208:209], v[18:19], s[28:29]
	v_mul_f64 v[18:19], v[18:19], s[22:23]
	v_add_f64 v[62:63], v[212:213], v[62:63]
	v_fma_f64 v[210:211], v[4:5], s[24:25], v[208:209]
	v_fma_f64 v[208:209], v[4:5], s[24:25], -v[208:209]
	v_add_f64 v[66:67], v[210:211], v[66:67]
	v_mul_f64 v[210:211], v[6:7], s[24:25]
	v_add_f64 v[64:65], v[208:209], v[64:65]
	v_mul_f64 v[6:7], v[6:7], s[26:27]
	v_fma_f64 v[208:209], v[16:17], s[28:29], v[210:211]
	v_fma_f64 v[212:213], v[16:17], s[20:21], v[210:211]
	v_add_f64 v[188:189], v[208:209], v[188:189]
	v_fma_f64 v[208:209], v[4:5], s[26:27], v[18:19]
	v_fma_f64 v[4:5], v[4:5], s[26:27], -v[18:19]
	v_mul_f64 v[18:19], v[218:219], s[36:37]
	v_add_f64 v[190:191], v[212:213], v[190:191]
	v_add_f64 v[196:197], v[208:209], v[196:197]
	v_add_f64 v[220:221], v[4:5], v[0:1]
	v_fma_f64 v[0:1], v[16:17], s[22:23], v[6:7]
	v_mul_f64 v[4:5], v[216:217], s[52:53]
	v_fma_f64 v[208:209], v[16:17], s[30:31], v[6:7]
	v_mul_f64 v[16:17], v[216:217], s[38:39]
	v_mul_f64 v[6:7], v[218:219], s[54:55]
	v_add_f64 v[222:223], v[0:1], v[2:3]
	v_fma_f64 v[0:1], v[224:225], s[54:55], v[4:5]
	v_fma_f64 v[4:5], v[224:225], s[54:55], -v[4:5]
	v_add_f64 v[198:199], v[208:209], v[198:199]
	v_fma_f64 v[2:3], v[226:227], s[56:57], v[6:7]
	v_fma_f64 v[6:7], v[226:227], s[52:53], v[6:7]
	v_add_f64 v[0:1], v[0:1], v[14:15]
	v_add_f64 v[4:5], v[4:5], v[12:13]
	v_fma_f64 v[12:13], v[224:225], s[36:37], v[16:17]
	v_fma_f64 v[16:17], v[224:225], s[36:37], -v[16:17]
	v_add_f64 v[6:7], v[6:7], v[20:21]
	v_fma_f64 v[14:15], v[226:227], s[34:35], v[18:19]
	v_fma_f64 v[18:19], v[226:227], s[38:39], v[18:19]
	v_add_f64 v[2:3], v[2:3], v[22:23]
	v_add_f64 v[12:13], v[12:13], v[26:27]
	;; [unrolled: 1-line block ×3, first 2 shown]
	v_mul_f64 v[24:25], v[216:217], s[46:47]
	v_add_f64 v[14:15], v[14:15], v[30:31]
	v_add_f64 v[18:19], v[18:19], v[28:29]
	v_mul_f64 v[26:27], v[218:219], s[48:49]
	v_fma_f64 v[20:21], v[224:225], s[48:49], v[24:25]
	v_fma_f64 v[24:25], v[224:225], s[48:49], -v[24:25]
	v_fma_f64 v[22:23], v[226:227], s[50:51], v[26:27]
	v_fma_f64 v[26:27], v[226:227], s[46:47], v[26:27]
	v_add_f64 v[20:21], v[20:21], v[34:35]
	v_mul_f64 v[34:35], v[218:219], s[24:25]
	v_add_f64 v[24:25], v[24:25], v[32:33]
	v_mul_f64 v[32:33], v[216:217], s[28:29]
	v_add_f64 v[26:27], v[26:27], v[36:37]
	v_add_f64 v[22:23], v[22:23], v[38:39]
	v_fma_f64 v[30:31], v[226:227], s[20:21], v[34:35]
	v_fma_f64 v[34:35], v[226:227], s[28:29], v[34:35]
	;; [unrolled: 1-line block ×3, first 2 shown]
	v_fma_f64 v[32:33], v[224:225], s[24:25], -v[32:33]
	v_add_f64 v[30:31], v[30:31], v[46:47]
	v_add_f64 v[34:35], v[34:35], v[44:45]
	v_mul_f64 v[44:45], v[216:217], s[18:19]
	v_add_f64 v[32:33], v[32:33], v[40:41]
	v_mul_f64 v[40:41], v[216:217], s[40:41]
	v_add_f64 v[28:29], v[28:29], v[42:43]
	v_mul_f64 v[42:43], v[218:219], s[42:43]
	v_fma_f64 v[46:47], v[224:225], s[12:13], v[44:45]
	v_fma_f64 v[44:45], v[224:225], s[12:13], -v[44:45]
	v_fma_f64 v[36:37], v[224:225], s[42:43], v[40:41]
	v_fma_f64 v[40:41], v[224:225], s[42:43], -v[40:41]
	v_fma_f64 v[38:39], v[226:227], s[44:45], v[42:43]
	v_fma_f64 v[42:43], v[226:227], s[40:41], v[42:43]
	v_add_f64 v[200:201], v[46:47], v[58:59]
	v_mul_f64 v[46:47], v[218:219], s[12:13]
	v_add_f64 v[204:205], v[44:45], v[56:57]
	v_add_f64 v[40:41], v[40:41], v[48:49]
	;; [unrolled: 1-line block ×5, first 2 shown]
	v_fma_f64 v[44:45], v[226:227], s[18:19], v[46:47]
	v_fma_f64 v[48:49], v[226:227], s[14:15], v[46:47]
	v_add_f64 v[206:207], v[44:45], v[60:61]
	v_mul_f64 v[44:45], v[216:217], s[22:23]
	v_add_f64 v[202:203], v[48:49], v[62:63]
	v_fma_f64 v[46:47], v[224:225], s[26:27], v[44:45]
	v_fma_f64 v[44:45], v[224:225], s[26:27], -v[44:45]
	v_add_f64 v[208:209], v[46:47], v[66:67]
	v_mul_f64 v[46:47], v[218:219], s[26:27]
	v_add_f64 v[212:213], v[44:45], v[64:65]
	v_fma_f64 v[44:45], v[226:227], s[22:23], v[46:47]
	v_fma_f64 v[48:49], v[226:227], s[30:31], v[46:47]
	v_add_f64 v[214:215], v[44:45], v[188:189]
	v_mul_f64 v[44:45], v[216:217], s[10:11]
	v_add_f64 v[210:211], v[48:49], v[190:191]
	v_fma_f64 v[46:47], v[224:225], s[8:9], v[44:45]
	v_fma_f64 v[44:45], v[224:225], s[8:9], -v[44:45]
	v_add_f64 v[216:217], v[46:47], v[196:197]
	v_mul_f64 v[46:47], v[218:219], s[8:9]
	v_add_f64 v[220:221], v[44:45], v[220:221]
	v_fma_f64 v[44:45], v[226:227], s[10:11], v[46:47]
	v_fma_f64 v[48:49], v[226:227], s[2:3], v[46:47]
	v_add_f64 v[222:223], v[44:45], v[222:223]
	buffer_load_dword v44, off, s[64:67], 0 offset:300 ; 4-byte Folded Reload
	buffer_load_dword v45, off, s[64:67], 0 offset:304 ; 4-byte Folded Reload
	;; [unrolled: 1-line block ×4, first 2 shown]
	v_add_f64 v[218:219], v[48:49], v[198:199]
	s_waitcnt vmcnt(0)
	ds_write_b128 v9, v[44:47]
	ds_write_b128 v9, v[0:3] offset:16
	ds_write_b128 v9, v[12:15] offset:32
	;; [unrolled: 1-line block ×16, first 2 shown]
	s_waitcnt lgkmcnt(0)
	s_barrier
	ds_read_b128 v[196:199], v8
	ds_read_b128 v[0:3], v8 offset:1632
	ds_read_b128 v[4:7], v8 offset:3264
	;; [unrolled: 1-line block ×16, first 2 shown]
	s_waitcnt lgkmcnt(14)
	v_mul_f64 v[9:10], v[154:155], v[2:3]
	s_waitcnt lgkmcnt(0)
	s_barrier
	v_fma_f64 v[9:10], v[152:153], v[0:1], v[9:10]
	v_mul_f64 v[0:1], v[154:155], v[0:1]
	v_fma_f64 v[44:45], v[152:153], v[2:3], -v[0:1]
	v_mul_f64 v[0:1], v[138:139], v[6:7]
	v_mul_f64 v[2:3], v[186:187], v[38:39]
	v_fma_f64 v[212:213], v[136:137], v[4:5], v[0:1]
	v_mul_f64 v[0:1], v[138:139], v[4:5]
	v_mul_f64 v[4:5], v[166:167], v[42:43]
	v_fma_f64 v[210:211], v[136:137], v[6:7], -v[0:1]
	v_mul_f64 v[0:1], v[134:135], v[14:15]
	v_mul_f64 v[6:7], v[174:175], v[234:235]
	v_fma_f64 v[208:209], v[132:133], v[12:13], v[0:1]
	v_mul_f64 v[0:1], v[134:135], v[12:13]
	v_add_f64 v[12:13], v[196:197], v[9:10]
	v_fma_f64 v[134:135], v[184:185], v[36:37], v[2:3]
	v_mul_f64 v[2:3], v[186:187], v[36:37]
	v_fma_f64 v[6:7], v[172:173], v[236:237], -v[6:7]
	v_fma_f64 v[206:207], v[132:133], v[14:15], -v[0:1]
	v_mul_f64 v[0:1], v[130:131], v[18:19]
	v_add_f64 v[14:15], v[198:199], v[44:45]
	v_add_f64 v[12:13], v[12:13], v[212:213]
	v_fma_f64 v[2:3], v[184:185], v[38:39], -v[2:3]
	v_fma_f64 v[204:205], v[128:129], v[16:17], v[0:1]
	v_mul_f64 v[0:1], v[130:131], v[16:17]
	v_add_f64 v[14:15], v[14:15], v[210:211]
	v_add_f64 v[12:13], v[12:13], v[208:209]
	v_fma_f64 v[202:203], v[128:129], v[18:19], -v[0:1]
	v_mul_f64 v[0:1], v[170:171], v[22:23]
	v_add_f64 v[14:15], v[14:15], v[206:207]
	v_add_f64 v[12:13], v[12:13], v[204:205]
	v_fma_f64 v[200:201], v[168:169], v[20:21], v[0:1]
	v_mul_f64 v[0:1], v[170:171], v[20:21]
	v_add_f64 v[14:15], v[14:15], v[202:203]
	v_add_f64 v[12:13], v[12:13], v[200:201]
	v_fma_f64 v[154:155], v[168:169], v[22:23], -v[0:1]
	v_mul_f64 v[0:1], v[150:151], v[26:27]
	v_add_f64 v[14:15], v[14:15], v[154:155]
	v_fma_f64 v[152:153], v[148:149], v[24:25], v[0:1]
	v_mul_f64 v[0:1], v[150:151], v[24:25]
	v_add_f64 v[12:13], v[12:13], v[152:153]
	v_fma_f64 v[150:151], v[148:149], v[26:27], -v[0:1]
	v_mul_f64 v[0:1], v[146:147], v[30:31]
	v_add_f64 v[14:15], v[14:15], v[150:151]
	v_fma_f64 v[148:149], v[144:145], v[28:29], v[0:1]
	v_mul_f64 v[0:1], v[146:147], v[28:29]
	;; [unrolled: 6-line block ×3, first 2 shown]
	v_add_f64 v[12:13], v[12:13], v[132:133]
	v_fma_f64 v[0:1], v[140:141], v[34:35], -v[0:1]
	v_fma_f64 v[140:141], v[164:165], v[40:41], v[4:5]
	v_mul_f64 v[4:5], v[166:167], v[40:41]
	v_add_f64 v[12:13], v[12:13], v[134:135]
	v_add_f64 v[14:15], v[14:15], v[0:1]
	v_fma_f64 v[138:139], v[164:165], v[42:43], -v[4:5]
	v_mul_f64 v[4:5], v[162:163], v[216:217]
	v_add_f64 v[12:13], v[12:13], v[140:141]
	v_add_f64 v[14:15], v[14:15], v[2:3]
	v_fma_f64 v[144:145], v[160:161], v[214:215], v[4:5]
	v_mul_f64 v[4:5], v[162:163], v[214:215]
	v_add_f64 v[14:15], v[14:15], v[138:139]
	v_add_f64 v[12:13], v[12:13], v[144:145]
	v_fma_f64 v[142:143], v[160:161], v[216:217], -v[4:5]
	v_mul_f64 v[4:5], v[158:159], v[220:221]
	v_add_f64 v[14:15], v[14:15], v[142:143]
	v_fma_f64 v[160:161], v[156:157], v[218:219], v[4:5]
	v_mul_f64 v[4:5], v[158:159], v[218:219]
	v_add_f64 v[12:13], v[12:13], v[160:161]
	v_fma_f64 v[146:147], v[156:157], v[220:221], -v[4:5]
	v_mul_f64 v[4:5], v[194:195], v[224:225]
	v_add_f64 v[14:15], v[14:15], v[146:147]
	v_fma_f64 v[158:159], v[192:193], v[222:223], v[4:5]
	v_mul_f64 v[4:5], v[194:195], v[222:223]
	;; [unrolled: 6-line block ×4, first 2 shown]
	v_add_f64 v[12:13], v[12:13], v[168:169]
	v_fma_f64 v[166:167], v[176:177], v[232:233], -v[4:5]
	v_mul_f64 v[4:5], v[174:175], v[236:237]
	v_add_f64 v[14:15], v[14:15], v[166:167]
	v_fma_f64 v[4:5], v[172:173], v[234:235], v[4:5]
	v_add_f64 v[130:131], v[14:15], v[6:7]
	v_add_f64 v[14:15], v[44:45], v[6:7]
	;; [unrolled: 1-line block ×4, first 2 shown]
	v_add_f64 v[4:5], v[9:10], -v[4:5]
	v_add_f64 v[6:7], v[44:45], -v[6:7]
	v_mul_f64 v[18:19], v[14:15], s[36:37]
	v_mul_f64 v[26:27], v[14:15], s[24:25]
	;; [unrolled: 1-line block ×9, first 2 shown]
	v_fma_f64 v[20:21], v[4:5], s[38:39], v[18:19]
	v_fma_f64 v[18:19], v[4:5], s[34:35], v[18:19]
	v_mul_f64 v[22:23], v[6:7], s[20:21]
	v_fma_f64 v[28:29], v[4:5], s[28:29], v[26:27]
	v_fma_f64 v[26:27], v[4:5], s[20:21], v[26:27]
	v_mul_f64 v[30:31], v[6:7], s[14:15]
	;; [unrolled: 3-line block ×7, first 2 shown]
	v_fma_f64 v[174:175], v[4:5], s[56:57], v[14:15]
	v_fma_f64 v[4:5], v[4:5], s[52:53], v[14:15]
	v_add_f64 v[14:15], v[210:211], v[166:167]
	v_add_f64 v[166:167], v[210:211], -v[166:167]
	v_fma_f64 v[16:17], v[12:13], s[36:37], v[9:10]
	v_fma_f64 v[9:10], v[12:13], s[36:37], -v[9:10]
	v_fma_f64 v[24:25], v[12:13], s[24:25], v[22:23]
	v_fma_f64 v[22:23], v[12:13], s[24:25], -v[22:23]
	;; [unrolled: 2-line block ×8, first 2 shown]
	v_add_f64 v[12:13], v[212:213], v[168:169]
	v_mul_f64 v[176:177], v[166:167], s[20:21]
	v_add_f64 v[16:17], v[196:197], v[16:17]
	v_add_f64 v[9:10], v[196:197], v[9:10]
	v_add_f64 v[168:169], v[212:213], -v[168:169]
	v_add_f64 v[18:19], v[198:199], v[18:19]
	v_add_f64 v[24:25], v[196:197], v[24:25]
	;; [unrolled: 1-line block ×4, first 2 shown]
	v_fma_f64 v[178:179], v[12:13], s[24:25], v[176:177]
	v_fma_f64 v[176:177], v[12:13], s[24:25], -v[176:177]
	v_add_f64 v[20:21], v[198:199], v[20:21]
	v_add_f64 v[32:33], v[196:197], v[32:33]
	;; [unrolled: 1-line block ×7, first 2 shown]
	v_mul_f64 v[178:179], v[14:15], s[24:25]
	v_add_f64 v[9:10], v[176:177], v[9:10]
	v_add_f64 v[38:39], v[196:197], v[38:39]
	;; [unrolled: 1-line block ×7, first 2 shown]
	v_fma_f64 v[176:177], v[168:169], s[20:21], v[178:179]
	v_fma_f64 v[180:181], v[168:169], s[28:29], v[178:179]
	v_add_f64 v[44:45], v[198:199], v[44:45]
	v_add_f64 v[56:57], v[196:197], v[56:57]
	;; [unrolled: 1-line block ×7, first 2 shown]
	v_mul_f64 v[176:177], v[166:167], s[2:3]
	v_add_f64 v[20:21], v[180:181], v[20:21]
	v_add_f64 v[62:63], v[196:197], v[62:63]
	;; [unrolled: 1-line block ×7, first 2 shown]
	v_fma_f64 v[178:179], v[12:13], s[8:9], v[176:177]
	v_fma_f64 v[176:177], v[12:13], s[8:9], -v[176:177]
	v_add_f64 v[174:175], v[198:199], v[174:175]
	v_add_f64 v[170:171], v[198:199], v[170:171]
	;; [unrolled: 1-line block ×3, first 2 shown]
	v_mul_f64 v[178:179], v[14:15], s[8:9]
	v_add_f64 v[22:23], v[176:177], v[22:23]
	v_fma_f64 v[176:177], v[168:169], s[2:3], v[178:179]
	v_fma_f64 v[180:181], v[168:169], s[10:11], v[178:179]
	v_add_f64 v[26:27], v[176:177], v[26:27]
	v_mul_f64 v[176:177], v[166:167], s[40:41]
	v_add_f64 v[28:29], v[180:181], v[28:29]
	v_fma_f64 v[178:179], v[12:13], s[42:43], v[176:177]
	v_fma_f64 v[176:177], v[12:13], s[42:43], -v[176:177]
	v_add_f64 v[32:33], v[178:179], v[32:33]
	v_mul_f64 v[178:179], v[14:15], s[42:43]
	v_add_f64 v[30:31], v[176:177], v[30:31]
	v_fma_f64 v[176:177], v[168:169], s[40:41], v[178:179]
	v_fma_f64 v[180:181], v[168:169], s[44:45], v[178:179]
	v_add_f64 v[34:35], v[176:177], v[34:35]
	v_mul_f64 v[176:177], v[166:167], s[52:53]
	v_add_f64 v[36:37], v[180:181], v[36:37]
	v_fma_f64 v[178:179], v[12:13], s[54:55], v[176:177]
	v_fma_f64 v[176:177], v[12:13], s[54:55], -v[176:177]
	v_add_f64 v[40:41], v[178:179], v[40:41]
	;; [unrolled: 10-line block ×4, first 2 shown]
	v_mul_f64 v[178:179], v[14:15], s[26:27]
	v_add_f64 v[54:55], v[176:177], v[54:55]
	v_fma_f64 v[176:177], v[168:169], s[30:31], v[178:179]
	v_fma_f64 v[180:181], v[168:169], s[22:23], v[178:179]
	v_add_f64 v[58:59], v[176:177], v[58:59]
	v_mul_f64 v[176:177], v[166:167], s[18:19]
	v_mul_f64 v[166:167], v[166:167], s[38:39]
	v_add_f64 v[60:61], v[180:181], v[60:61]
	v_fma_f64 v[178:179], v[12:13], s[12:13], v[176:177]
	v_fma_f64 v[176:177], v[12:13], s[12:13], -v[176:177]
	v_add_f64 v[64:65], v[178:179], v[64:65]
	v_mul_f64 v[178:179], v[14:15], s[12:13]
	v_add_f64 v[62:63], v[176:177], v[62:63]
	v_mul_f64 v[14:15], v[14:15], s[36:37]
	v_fma_f64 v[176:177], v[168:169], s[18:19], v[178:179]
	v_fma_f64 v[180:181], v[168:169], s[14:15], v[178:179]
	v_add_f64 v[66:67], v[176:177], v[66:67]
	v_fma_f64 v[176:177], v[12:13], s[36:37], v[166:167]
	v_fma_f64 v[12:13], v[12:13], s[36:37], -v[166:167]
	v_add_f64 v[170:171], v[180:181], v[170:171]
	v_add_f64 v[172:173], v[176:177], v[172:173]
	v_fma_f64 v[176:177], v[168:169], s[34:35], v[14:15]
	v_add_f64 v[6:7], v[12:13], v[6:7]
	v_fma_f64 v[12:13], v[168:169], s[38:39], v[14:15]
	v_add_f64 v[14:15], v[206:207], v[162:163]
	v_add_f64 v[162:163], v[206:207], -v[162:163]
	v_add_f64 v[174:175], v[176:177], v[174:175]
	v_add_f64 v[4:5], v[12:13], v[4:5]
	;; [unrolled: 1-line block ×3, first 2 shown]
	v_mul_f64 v[166:167], v[162:163], s[14:15]
	v_add_f64 v[164:165], v[208:209], -v[164:165]
	v_fma_f64 v[168:169], v[12:13], s[12:13], v[166:167]
	v_fma_f64 v[166:167], v[12:13], s[12:13], -v[166:167]
	v_add_f64 v[16:17], v[168:169], v[16:17]
	v_mul_f64 v[168:169], v[14:15], s[12:13]
	v_add_f64 v[9:10], v[166:167], v[9:10]
	v_fma_f64 v[166:167], v[164:165], s[14:15], v[168:169]
	v_fma_f64 v[176:177], v[164:165], s[18:19], v[168:169]
	v_add_f64 v[18:19], v[166:167], v[18:19]
	v_mul_f64 v[166:167], v[162:163], s[40:41]
	v_add_f64 v[20:21], v[176:177], v[20:21]
	v_fma_f64 v[168:169], v[12:13], s[42:43], v[166:167]
	v_fma_f64 v[166:167], v[12:13], s[42:43], -v[166:167]
	v_add_f64 v[24:25], v[168:169], v[24:25]
	v_mul_f64 v[168:169], v[14:15], s[42:43]
	v_add_f64 v[22:23], v[166:167], v[22:23]
	v_fma_f64 v[166:167], v[164:165], s[40:41], v[168:169]
	v_fma_f64 v[176:177], v[164:165], s[44:45], v[168:169]
	v_add_f64 v[26:27], v[166:167], v[26:27]
	v_mul_f64 v[166:167], v[162:163], s[56:57]
	v_add_f64 v[28:29], v[176:177], v[28:29]
	;; [unrolled: 10-line block ×5, first 2 shown]
	v_fma_f64 v[168:169], v[12:13], s[36:37], v[166:167]
	v_fma_f64 v[166:167], v[12:13], s[36:37], -v[166:167]
	v_add_f64 v[56:57], v[168:169], v[56:57]
	v_mul_f64 v[168:169], v[14:15], s[36:37]
	v_add_f64 v[54:55], v[166:167], v[54:55]
	v_fma_f64 v[166:167], v[164:165], s[34:35], v[168:169]
	v_fma_f64 v[176:177], v[164:165], s[38:39], v[168:169]
	v_add_f64 v[58:59], v[166:167], v[58:59]
	v_mul_f64 v[166:167], v[162:163], s[2:3]
	v_mul_f64 v[162:163], v[162:163], s[46:47]
	v_add_f64 v[60:61], v[176:177], v[60:61]
	v_fma_f64 v[168:169], v[12:13], s[8:9], v[166:167]
	v_fma_f64 v[166:167], v[12:13], s[8:9], -v[166:167]
	v_add_f64 v[64:65], v[168:169], v[64:65]
	v_mul_f64 v[168:169], v[14:15], s[8:9]
	v_add_f64 v[62:63], v[166:167], v[62:63]
	v_mul_f64 v[14:15], v[14:15], s[48:49]
	v_fma_f64 v[166:167], v[164:165], s[2:3], v[168:169]
	v_fma_f64 v[176:177], v[164:165], s[10:11], v[168:169]
	v_fma_f64 v[168:169], v[164:165], s[50:51], v[14:15]
	v_add_f64 v[66:67], v[166:167], v[66:67]
	v_fma_f64 v[166:167], v[12:13], s[48:49], v[162:163]
	v_fma_f64 v[12:13], v[12:13], s[48:49], -v[162:163]
	v_add_f64 v[168:169], v[168:169], v[174:175]
	v_add_f64 v[170:171], v[176:177], v[170:171]
	;; [unrolled: 1-line block ×4, first 2 shown]
	v_fma_f64 v[12:13], v[164:165], s[46:47], v[14:15]
	v_add_f64 v[14:15], v[202:203], v[156:157]
	v_add_f64 v[156:157], v[202:203], -v[156:157]
	v_add_f64 v[4:5], v[12:13], v[4:5]
	v_add_f64 v[12:13], v[204:205], v[158:159]
	v_mul_f64 v[162:163], v[156:157], s[2:3]
	v_add_f64 v[158:159], v[204:205], -v[158:159]
	v_fma_f64 v[164:165], v[12:13], s[8:9], v[162:163]
	v_fma_f64 v[162:163], v[12:13], s[8:9], -v[162:163]
	v_add_f64 v[16:17], v[164:165], v[16:17]
	v_mul_f64 v[164:165], v[14:15], s[8:9]
	v_add_f64 v[9:10], v[162:163], v[9:10]
	v_fma_f64 v[162:163], v[158:159], s[2:3], v[164:165]
	v_fma_f64 v[172:173], v[158:159], s[10:11], v[164:165]
	v_add_f64 v[18:19], v[162:163], v[18:19]
	v_mul_f64 v[162:163], v[156:157], s[52:53]
	v_add_f64 v[20:21], v[172:173], v[20:21]
	v_fma_f64 v[164:165], v[12:13], s[54:55], v[162:163]
	v_fma_f64 v[162:163], v[12:13], s[54:55], -v[162:163]
	v_add_f64 v[24:25], v[164:165], v[24:25]
	v_mul_f64 v[164:165], v[14:15], s[54:55]
	v_add_f64 v[22:23], v[162:163], v[22:23]
	v_fma_f64 v[162:163], v[158:159], s[52:53], v[164:165]
	v_fma_f64 v[172:173], v[158:159], s[56:57], v[164:165]
	v_add_f64 v[26:27], v[162:163], v[26:27]
	v_mul_f64 v[162:163], v[156:157], s[30:31]
	v_add_f64 v[28:29], v[172:173], v[28:29]
	;; [unrolled: 10-line block ×5, first 2 shown]
	v_fma_f64 v[164:165], v[12:13], s[48:49], v[162:163]
	v_fma_f64 v[162:163], v[12:13], s[48:49], -v[162:163]
	v_add_f64 v[56:57], v[164:165], v[56:57]
	v_mul_f64 v[164:165], v[14:15], s[48:49]
	v_add_f64 v[54:55], v[162:163], v[54:55]
	v_fma_f64 v[162:163], v[158:159], s[46:47], v[164:165]
	v_fma_f64 v[172:173], v[158:159], s[50:51], v[164:165]
	v_add_f64 v[58:59], v[162:163], v[58:59]
	v_mul_f64 v[162:163], v[156:157], s[44:45]
	v_mul_f64 v[156:157], v[156:157], s[28:29]
	v_add_f64 v[60:61], v[172:173], v[60:61]
	v_fma_f64 v[164:165], v[12:13], s[42:43], v[162:163]
	v_fma_f64 v[162:163], v[12:13], s[42:43], -v[162:163]
	v_add_f64 v[64:65], v[164:165], v[64:65]
	v_mul_f64 v[164:165], v[14:15], s[42:43]
	v_add_f64 v[62:63], v[162:163], v[62:63]
	v_mul_f64 v[14:15], v[14:15], s[24:25]
	v_fma_f64 v[162:163], v[158:159], s[44:45], v[164:165]
	v_fma_f64 v[172:173], v[158:159], s[40:41], v[164:165]
	v_fma_f64 v[164:165], v[158:159], s[20:21], v[14:15]
	v_add_f64 v[66:67], v[162:163], v[66:67]
	v_fma_f64 v[162:163], v[12:13], s[24:25], v[156:157]
	v_fma_f64 v[12:13], v[12:13], s[24:25], -v[156:157]
	v_add_f64 v[156:157], v[200:201], -v[160:161]
	v_add_f64 v[164:165], v[164:165], v[168:169]
	v_add_f64 v[170:171], v[172:173], v[170:171]
	v_add_f64 v[168:169], v[0:1], -v[2:3]
	v_add_f64 v[162:163], v[162:163], v[166:167]
	v_add_f64 v[6:7], v[12:13], v[6:7]
	v_fma_f64 v[12:13], v[158:159], s[28:29], v[14:15]
	v_add_f64 v[14:15], v[154:155], v[146:147]
	v_add_f64 v[146:147], v[154:155], -v[146:147]
	v_add_f64 v[166:167], v[132:133], -v[134:135]
	v_add_f64 v[4:5], v[12:13], v[4:5]
	v_add_f64 v[12:13], v[200:201], v[160:161]
	v_mul_f64 v[154:155], v[146:147], s[22:23]
	v_fma_f64 v[158:159], v[12:13], s[26:27], v[154:155]
	v_fma_f64 v[154:155], v[12:13], s[26:27], -v[154:155]
	v_add_f64 v[16:17], v[158:159], v[16:17]
	v_mul_f64 v[158:159], v[14:15], s[26:27]
	v_add_f64 v[9:10], v[154:155], v[9:10]
	v_fma_f64 v[154:155], v[156:157], s[22:23], v[158:159]
	v_fma_f64 v[160:161], v[156:157], s[30:31], v[158:159]
	v_add_f64 v[18:19], v[154:155], v[18:19]
	v_mul_f64 v[154:155], v[146:147], s[50:51]
	v_add_f64 v[20:21], v[160:161], v[20:21]
	v_fma_f64 v[158:159], v[12:13], s[48:49], v[154:155]
	v_fma_f64 v[154:155], v[12:13], s[48:49], -v[154:155]
	v_add_f64 v[24:25], v[158:159], v[24:25]
	v_mul_f64 v[158:159], v[14:15], s[48:49]
	v_add_f64 v[22:23], v[154:155], v[22:23]
	v_fma_f64 v[154:155], v[156:157], s[50:51], v[158:159]
	v_fma_f64 v[160:161], v[156:157], s[46:47], v[158:159]
	v_add_f64 v[26:27], v[154:155], v[26:27]
	v_mul_f64 v[154:155], v[146:147], s[28:29]
	v_add_f64 v[28:29], v[160:161], v[28:29]
	v_fma_f64 v[158:159], v[12:13], s[24:25], v[154:155]
	v_fma_f64 v[154:155], v[12:13], s[24:25], -v[154:155]
	v_add_f64 v[32:33], v[158:159], v[32:33]
	v_mul_f64 v[158:159], v[14:15], s[24:25]
	v_add_f64 v[30:31], v[154:155], v[30:31]
	v_fma_f64 v[154:155], v[156:157], s[28:29], v[158:159]
	v_fma_f64 v[160:161], v[156:157], s[20:21], v[158:159]
	v_add_f64 v[34:35], v[154:155], v[34:35]
	v_mul_f64 v[154:155], v[146:147], s[14:15]
	v_add_f64 v[36:37], v[160:161], v[36:37]
	v_fma_f64 v[158:159], v[12:13], s[12:13], v[154:155]
	v_fma_f64 v[154:155], v[12:13], s[12:13], -v[154:155]
	v_add_f64 v[40:41], v[158:159], v[40:41]
	v_mul_f64 v[158:159], v[14:15], s[12:13]
	v_add_f64 v[38:39], v[154:155], v[38:39]
	v_fma_f64 v[154:155], v[156:157], s[14:15], v[158:159]
	v_fma_f64 v[160:161], v[156:157], s[18:19], v[158:159]
	v_add_f64 v[42:43], v[154:155], v[42:43]
	v_mul_f64 v[154:155], v[146:147], s[52:53]
	v_add_f64 v[44:45], v[160:161], v[44:45]
	v_fma_f64 v[158:159], v[12:13], s[54:55], v[154:155]
	v_fma_f64 v[154:155], v[12:13], s[54:55], -v[154:155]
	v_add_f64 v[48:49], v[158:159], v[48:49]
	v_mul_f64 v[158:159], v[14:15], s[54:55]
	v_add_f64 v[46:47], v[154:155], v[46:47]
	v_fma_f64 v[154:155], v[156:157], s[52:53], v[158:159]
	v_fma_f64 v[160:161], v[156:157], s[56:57], v[158:159]
	v_add_f64 v[50:51], v[154:155], v[50:51]
	v_mul_f64 v[154:155], v[146:147], s[10:11]
	v_add_f64 v[52:53], v[160:161], v[52:53]
	v_fma_f64 v[158:159], v[12:13], s[8:9], v[154:155]
	v_fma_f64 v[154:155], v[12:13], s[8:9], -v[154:155]
	v_add_f64 v[56:57], v[158:159], v[56:57]
	v_mul_f64 v[158:159], v[14:15], s[8:9]
	v_add_f64 v[54:55], v[154:155], v[54:55]
	v_fma_f64 v[154:155], v[156:157], s[10:11], v[158:159]
	v_fma_f64 v[160:161], v[156:157], s[2:3], v[158:159]
	v_add_f64 v[58:59], v[154:155], v[58:59]
	v_mul_f64 v[154:155], v[146:147], s[34:35]
	v_mul_f64 v[146:147], v[146:147], s[40:41]
	v_add_f64 v[60:61], v[160:161], v[60:61]
	v_fma_f64 v[158:159], v[12:13], s[36:37], v[154:155]
	v_fma_f64 v[154:155], v[12:13], s[36:37], -v[154:155]
	v_add_f64 v[64:65], v[158:159], v[64:65]
	v_mul_f64 v[158:159], v[14:15], s[36:37]
	v_add_f64 v[62:63], v[154:155], v[62:63]
	v_mul_f64 v[14:15], v[14:15], s[42:43]
	v_fma_f64 v[154:155], v[156:157], s[34:35], v[158:159]
	v_fma_f64 v[160:161], v[156:157], s[38:39], v[158:159]
	;; [unrolled: 1-line block ×3, first 2 shown]
	v_add_f64 v[66:67], v[154:155], v[66:67]
	v_fma_f64 v[154:155], v[12:13], s[42:43], v[146:147]
	v_fma_f64 v[12:13], v[12:13], s[42:43], -v[146:147]
	v_add_f64 v[158:159], v[158:159], v[164:165]
	v_add_f64 v[160:161], v[160:161], v[170:171]
	;; [unrolled: 1-line block ×5, first 2 shown]
	v_fma_f64 v[12:13], v[156:157], s[40:41], v[14:15]
	v_add_f64 v[14:15], v[150:151], v[142:143]
	v_add_f64 v[142:143], v[150:151], -v[142:143]
	v_add_f64 v[162:163], v[132:133], v[134:135]
	v_add_f64 v[4:5], v[12:13], v[4:5]
	v_add_f64 v[12:13], v[152:153], v[144:145]
	v_mul_f64 v[146:147], v[142:143], s[40:41]
	v_add_f64 v[144:145], v[152:153], -v[144:145]
	v_fma_f64 v[150:151], v[12:13], s[42:43], v[146:147]
	v_fma_f64 v[146:147], v[12:13], s[42:43], -v[146:147]
	v_add_f64 v[16:17], v[150:151], v[16:17]
	v_mul_f64 v[150:151], v[14:15], s[42:43]
	v_add_f64 v[9:10], v[146:147], v[9:10]
	v_fma_f64 v[146:147], v[144:145], s[40:41], v[150:151]
	v_fma_f64 v[152:153], v[144:145], s[44:45], v[150:151]
	v_add_f64 v[18:19], v[146:147], v[18:19]
	v_mul_f64 v[146:147], v[142:143], s[30:31]
	v_add_f64 v[20:21], v[152:153], v[20:21]
	v_fma_f64 v[150:151], v[12:13], s[26:27], v[146:147]
	v_fma_f64 v[146:147], v[12:13], s[26:27], -v[146:147]
	v_add_f64 v[24:25], v[150:151], v[24:25]
	v_mul_f64 v[150:151], v[14:15], s[26:27]
	v_add_f64 v[22:23], v[146:147], v[22:23]
	v_fma_f64 v[146:147], v[144:145], s[30:31], v[150:151]
	v_fma_f64 v[152:153], v[144:145], s[22:23], v[150:151]
	v_add_f64 v[26:27], v[146:147], v[26:27]
	v_mul_f64 v[146:147], v[142:143], s[34:35]
	v_add_f64 v[28:29], v[152:153], v[28:29]
	;; [unrolled: 10-line block ×5, first 2 shown]
	v_fma_f64 v[150:151], v[12:13], s[24:25], v[146:147]
	v_fma_f64 v[146:147], v[12:13], s[24:25], -v[146:147]
	v_add_f64 v[56:57], v[150:151], v[56:57]
	v_mul_f64 v[150:151], v[14:15], s[24:25]
	v_add_f64 v[54:55], v[146:147], v[54:55]
	v_fma_f64 v[146:147], v[144:145], s[20:21], v[150:151]
	v_fma_f64 v[152:153], v[144:145], s[28:29], v[150:151]
	v_add_f64 v[58:59], v[146:147], v[58:59]
	v_mul_f64 v[146:147], v[142:143], s[52:53]
	v_mul_f64 v[142:143], v[142:143], s[18:19]
	v_add_f64 v[60:61], v[152:153], v[60:61]
	v_fma_f64 v[150:151], v[12:13], s[54:55], v[146:147]
	v_fma_f64 v[146:147], v[12:13], s[54:55], -v[146:147]
	v_add_f64 v[64:65], v[150:151], v[64:65]
	v_mul_f64 v[150:151], v[14:15], s[54:55]
	v_add_f64 v[62:63], v[146:147], v[62:63]
	v_mul_f64 v[14:15], v[14:15], s[12:13]
	v_fma_f64 v[146:147], v[144:145], s[52:53], v[150:151]
	v_fma_f64 v[152:153], v[144:145], s[56:57], v[150:151]
	;; [unrolled: 1-line block ×3, first 2 shown]
	v_add_f64 v[66:67], v[146:147], v[66:67]
	v_fma_f64 v[146:147], v[12:13], s[12:13], v[142:143]
	v_fma_f64 v[12:13], v[12:13], s[12:13], -v[142:143]
	v_add_f64 v[150:151], v[150:151], v[158:159]
	v_add_f64 v[152:153], v[152:153], v[160:161]
	;; [unrolled: 1-line block ×4, first 2 shown]
	v_fma_f64 v[12:13], v[144:145], s[18:19], v[14:15]
	v_add_f64 v[14:15], v[136:137], v[138:139]
	v_add_f64 v[136:137], v[136:137], -v[138:139]
	v_add_f64 v[4:5], v[12:13], v[4:5]
	v_add_f64 v[12:13], v[148:149], v[140:141]
	v_mul_f64 v[138:139], v[136:137], s[46:47]
	v_add_f64 v[140:141], v[148:149], -v[140:141]
	v_fma_f64 v[142:143], v[12:13], s[48:49], v[138:139]
	v_fma_f64 v[138:139], v[12:13], s[48:49], -v[138:139]
	v_add_f64 v[16:17], v[142:143], v[16:17]
	v_mul_f64 v[142:143], v[14:15], s[48:49]
	v_add_f64 v[9:10], v[138:139], v[9:10]
	v_fma_f64 v[138:139], v[140:141], s[46:47], v[142:143]
	v_fma_f64 v[144:145], v[140:141], s[50:51], v[142:143]
	v_add_f64 v[18:19], v[138:139], v[18:19]
	v_mul_f64 v[138:139], v[136:137], s[18:19]
	v_add_f64 v[20:21], v[144:145], v[20:21]
	v_fma_f64 v[142:143], v[12:13], s[12:13], v[138:139]
	v_fma_f64 v[138:139], v[12:13], s[12:13], -v[138:139]
	v_add_f64 v[24:25], v[142:143], v[24:25]
	v_mul_f64 v[142:143], v[14:15], s[12:13]
	v_add_f64 v[22:23], v[138:139], v[22:23]
	v_fma_f64 v[138:139], v[140:141], s[18:19], v[142:143]
	v_fma_f64 v[144:145], v[140:141], s[14:15], v[142:143]
	v_add_f64 v[26:27], v[138:139], v[26:27]
	v_mul_f64 v[138:139], v[136:137], s[2:3]
	v_add_f64 v[28:29], v[144:145], v[28:29]
	;; [unrolled: 10-line block ×5, first 2 shown]
	v_fma_f64 v[142:143], v[12:13], s[54:55], v[138:139]
	v_fma_f64 v[138:139], v[12:13], s[54:55], -v[138:139]
	v_add_f64 v[56:57], v[142:143], v[56:57]
	v_mul_f64 v[142:143], v[14:15], s[54:55]
	v_add_f64 v[54:55], v[138:139], v[54:55]
	v_fma_f64 v[138:139], v[140:141], s[52:53], v[142:143]
	v_fma_f64 v[144:145], v[140:141], s[56:57], v[142:143]
	v_add_f64 v[58:59], v[138:139], v[58:59]
	v_mul_f64 v[138:139], v[136:137], s[28:29]
	v_mul_f64 v[136:137], v[136:137], s[22:23]
	v_add_f64 v[60:61], v[144:145], v[60:61]
	v_fma_f64 v[142:143], v[12:13], s[24:25], v[138:139]
	v_fma_f64 v[138:139], v[12:13], s[24:25], -v[138:139]
	v_add_f64 v[64:65], v[142:143], v[64:65]
	v_mul_f64 v[142:143], v[14:15], s[24:25]
	v_add_f64 v[62:63], v[138:139], v[62:63]
	v_mul_f64 v[14:15], v[14:15], s[26:27]
	v_fma_f64 v[138:139], v[140:141], s[28:29], v[142:143]
	v_fma_f64 v[144:145], v[140:141], s[20:21], v[142:143]
	v_add_f64 v[66:67], v[138:139], v[66:67]
	v_fma_f64 v[138:139], v[12:13], s[26:27], v[136:137]
	v_fma_f64 v[12:13], v[12:13], s[26:27], -v[136:137]
	v_add_f64 v[152:153], v[144:145], v[152:153]
	v_add_f64 v[154:155], v[138:139], v[146:147]
	;; [unrolled: 1-line block ×3, first 2 shown]
	v_fma_f64 v[6:7], v[140:141], s[22:23], v[14:15]
	v_mul_f64 v[12:13], v[164:165], s[36:37]
	v_fma_f64 v[138:139], v[140:141], s[30:31], v[14:15]
	v_add_f64 v[160:161], v[6:7], v[4:5]
	v_mul_f64 v[4:5], v[168:169], s[52:53]
	v_mul_f64 v[6:7], v[164:165], s[54:55]
	v_add_f64 v[156:157], v[138:139], v[150:151]
	v_fma_f64 v[0:1], v[162:163], s[54:55], v[4:5]
	v_fma_f64 v[4:5], v[162:163], s[54:55], -v[4:5]
	v_fma_f64 v[2:3], v[166:167], s[56:57], v[6:7]
	v_add_f64 v[0:1], v[0:1], v[16:17]
	v_add_f64 v[132:133], v[4:5], v[9:10]
	v_fma_f64 v[4:5], v[166:167], s[52:53], v[6:7]
	v_mul_f64 v[9:10], v[168:169], s[38:39]
	v_fma_f64 v[6:7], v[166:167], s[34:35], v[12:13]
	v_mul_f64 v[16:17], v[164:165], s[48:49]
	v_add_f64 v[2:3], v[2:3], v[20:21]
	v_mul_f64 v[20:21], v[164:165], s[24:25]
	v_add_f64 v[134:135], v[4:5], v[18:19]
	v_fma_f64 v[4:5], v[162:163], s[36:37], v[9:10]
	v_fma_f64 v[9:10], v[162:163], s[36:37], -v[9:10]
	v_fma_f64 v[14:15], v[166:167], s[50:51], v[16:17]
	v_add_f64 v[6:7], v[6:7], v[28:29]
	v_fma_f64 v[18:19], v[166:167], s[20:21], v[20:21]
	v_add_f64 v[4:5], v[4:5], v[24:25]
	v_add_f64 v[136:137], v[9:10], v[22:23]
	v_fma_f64 v[9:10], v[166:167], s[38:39], v[12:13]
	v_mul_f64 v[24:25], v[164:165], s[42:43]
	v_add_f64 v[14:15], v[14:15], v[36:37]
	v_add_f64 v[18:19], v[18:19], v[44:45]
	v_mul_f64 v[44:45], v[164:165], s[8:9]
	v_add_f64 v[138:139], v[9:10], v[26:27]
	v_mul_f64 v[9:10], v[168:169], s[46:47]
	v_fma_f64 v[22:23], v[166:167], s[44:45], v[24:25]
	v_fma_f64 v[12:13], v[162:163], s[48:49], v[9:10]
	v_fma_f64 v[9:10], v[162:163], s[48:49], -v[9:10]
	v_add_f64 v[22:23], v[22:23], v[52:53]
	v_add_f64 v[12:13], v[12:13], v[32:33]
	;; [unrolled: 1-line block ×3, first 2 shown]
	v_fma_f64 v[9:10], v[166:167], s[46:47], v[16:17]
	v_mul_f64 v[30:31], v[164:165], s[12:13]
	v_add_f64 v[142:143], v[9:10], v[34:35]
	v_mul_f64 v[9:10], v[168:169], s[28:29]
	v_fma_f64 v[26:27], v[166:167], s[14:15], v[30:31]
	v_fma_f64 v[16:17], v[162:163], s[24:25], v[9:10]
	v_fma_f64 v[9:10], v[162:163], s[24:25], -v[9:10]
	v_add_f64 v[26:27], v[26:27], v[60:61]
	v_add_f64 v[16:17], v[16:17], v[40:41]
	;; [unrolled: 1-line block ×3, first 2 shown]
	v_fma_f64 v[9:10], v[166:167], s[28:29], v[20:21]
	v_mul_f64 v[38:39], v[164:165], s[26:27]
	v_add_f64 v[150:151], v[9:10], v[42:43]
	v_mul_f64 v[9:10], v[168:169], s[40:41]
	v_fma_f64 v[34:35], v[166:167], s[30:31], v[38:39]
	v_fma_f64 v[42:43], v[166:167], s[2:3], v[44:45]
	;; [unrolled: 1-line block ×3, first 2 shown]
	v_fma_f64 v[9:10], v[162:163], s[42:43], -v[9:10]
	v_add_f64 v[34:35], v[34:35], v[152:153]
	v_add_f64 v[42:43], v[42:43], v[156:157]
	;; [unrolled: 1-line block ×4, first 2 shown]
	v_fma_f64 v[9:10], v[166:167], s[40:41], v[24:25]
	v_add_f64 v[146:147], v[9:10], v[50:51]
	v_mul_f64 v[9:10], v[168:169], s[18:19]
	v_fma_f64 v[24:25], v[162:163], s[12:13], v[9:10]
	v_fma_f64 v[9:10], v[162:163], s[12:13], -v[9:10]
	v_add_f64 v[24:25], v[24:25], v[56:57]
	v_add_f64 v[28:29], v[9:10], v[54:55]
	v_fma_f64 v[9:10], v[166:167], s[18:19], v[30:31]
	v_add_f64 v[30:31], v[9:10], v[58:59]
	v_mul_f64 v[9:10], v[168:169], s[22:23]
	v_fma_f64 v[32:33], v[162:163], s[26:27], v[9:10]
	v_fma_f64 v[9:10], v[162:163], s[26:27], -v[9:10]
	v_add_f64 v[32:33], v[32:33], v[64:65]
	v_add_f64 v[36:37], v[9:10], v[62:63]
	;; [unrolled: 7-line block ×3, first 2 shown]
	v_fma_f64 v[9:10], v[166:167], s[10:11], v[44:45]
	v_add_f64 v[154:155], v[9:10], v[160:161]
	ds_write_b128 v11, v[128:131]
	ds_write_b128 v11, v[0:3] offset:272
	ds_write_b128 v11, v[4:7] offset:544
	;; [unrolled: 1-line block ×16, first 2 shown]
	s_waitcnt lgkmcnt(0)
	s_barrier
	ds_read_b128 v[152:155], v8
	ds_read_b128 v[192:195], v8 offset:4624
	ds_read_b128 v[184:187], v8 offset:9248
	;; [unrolled: 1-line block ×11, first 2 shown]
	s_and_saveexec_b64 s[2:3], s[0:1]
	s_cbranch_execz .LBB0_7
; %bb.6:
	ds_read_b128 v[144:147], v8 offset:3264
	ds_read_b128 v[148:151], v8 offset:7888
	;; [unrolled: 1-line block ×6, first 2 shown]
	s_waitcnt lgkmcnt(0)
	buffer_store_dword v4, off, s[64:67], 0 offset:4 ; 4-byte Folded Spill
	s_nop 0
	buffer_store_dword v5, off, s[64:67], 0 offset:8 ; 4-byte Folded Spill
	buffer_store_dword v6, off, s[64:67], 0 offset:12 ; 4-byte Folded Spill
	;; [unrolled: 1-line block ×3, first 2 shown]
.LBB0_7:
	s_or_b64 exec, exec, s[2:3]
	s_waitcnt lgkmcnt(9)
	v_mul_f64 v[9:10], v[118:119], v[186:187]
	s_waitcnt lgkmcnt(8)
	v_mul_f64 v[15:16], v[102:103], v[180:181]
	;; [unrolled: 2-line block ×5, first 2 shown]
	v_mul_f64 v[6:7], v[110:111], v[192:193]
	v_mul_f64 v[11:12], v[118:119], v[184:185]
	;; [unrolled: 1-line block ×3, first 2 shown]
	v_fma_f64 v[9:10], v[116:117], v[184:185], v[9:10]
	v_mul_f64 v[19:20], v[94:95], v[172:173]
	v_mul_f64 v[21:22], v[114:115], v[170:171]
	v_fma_f64 v[15:16], v[100:101], v[182:183], -v[15:16]
	v_fma_f64 v[17:18], v[92:93], v[172:173], v[17:18]
	v_fma_f64 v[23:24], v[112:113], v[170:171], -v[23:24]
	v_fma_f64 v[31:32], v[120:121], v[176:177], v[25:26]
	s_waitcnt lgkmcnt(3)
	v_mul_f64 v[25:26], v[106:107], v[164:165]
	v_mul_f64 v[4:5], v[110:111], v[194:195]
	v_fma_f64 v[6:7], v[108:109], v[194:195], -v[6:7]
	v_fma_f64 v[11:12], v[116:117], v[186:187], -v[11:12]
	v_fma_f64 v[13:14], v[100:101], v[180:181], v[13:14]
	v_fma_f64 v[19:20], v[92:93], v[174:175], -v[19:20]
	v_fma_f64 v[21:22], v[112:113], v[168:169], v[21:22]
	v_add_f64 v[47:48], v[15:16], v[23:24]
	v_fma_f64 v[43:44], v[104:105], v[166:167], -v[25:26]
	v_add_f64 v[25:26], v[9:10], v[17:18]
	v_fma_f64 v[4:5], v[108:109], v[192:193], v[4:5]
	s_mov_b32 s2, 0xe8584caa
	s_mov_b32 s3, 0xbfebb67a
	v_add_f64 v[49:50], v[11:12], -v[19:20]
	v_add_f64 v[53:54], v[13:14], v[21:22]
	v_fma_f64 v[47:48], v[47:48], -0.5, v[6:7]
	v_add_f64 v[55:56], v[13:14], -v[21:22]
	v_fma_f64 v[25:26], v[25:26], -0.5, v[152:153]
	s_mov_b32 s9, 0x3febb67a
	s_mov_b32 s8, s2
	v_mul_f64 v[29:30], v[106:107], v[166:167]
	s_waitcnt lgkmcnt(2)
	v_mul_f64 v[35:36], v[98:99], v[160:161]
	s_waitcnt lgkmcnt(1)
	v_mul_f64 v[37:38], v[90:91], v[158:159]
	v_add_f64 v[45:46], v[152:153], v[9:10]
	s_waitcnt lgkmcnt(0)
	v_mul_f64 v[51:52], v[82:83], v[128:129]
	v_fma_f64 v[57:58], v[49:50], s[2:3], v[25:26]
	v_add_f64 v[59:60], v[11:12], v[19:20]
	v_fma_f64 v[53:54], v[53:54], -0.5, v[4:5]
	v_add_f64 v[61:62], v[15:16], -v[23:24]
	v_fma_f64 v[25:26], v[49:50], s[8:9], v[25:26]
	v_fma_f64 v[49:50], v[55:56], s[8:9], v[47:48]
	;; [unrolled: 1-line block ×3, first 2 shown]
	v_add_f64 v[4:5], v[4:5], v[13:14]
	v_mul_f64 v[27:28], v[122:123], v[176:177]
	v_mul_f64 v[33:34], v[98:99], v[162:163]
	v_fma_f64 v[29:30], v[104:105], v[164:165], v[29:30]
	v_mul_f64 v[39:40], v[90:91], v[156:157]
	v_mul_f64 v[41:42], v[82:83], v[130:131]
	v_fma_f64 v[35:36], v[96:97], v[162:163], -v[35:36]
	v_fma_f64 v[37:38], v[88:89], v[156:157], v[37:38]
	v_add_f64 v[45:46], v[45:46], v[17:18]
	v_add_f64 v[11:12], v[154:155], v[11:12]
	v_fma_f64 v[55:56], v[59:60], -0.5, v[154:155]
	v_add_f64 v[9:10], v[9:10], -v[17:18]
	v_fma_f64 v[13:14], v[61:62], s[2:3], v[53:54]
	v_fma_f64 v[17:18], v[61:62], s[8:9], v[53:54]
	v_mul_f64 v[53:54], v[49:50], s[2:3]
	v_mul_f64 v[59:60], v[47:48], s[2:3]
	v_add_f64 v[6:7], v[6:7], v[15:16]
	v_mul_f64 v[15:16], v[47:48], -0.5
	v_add_f64 v[21:22], v[4:5], v[21:22]
	v_fma_f64 v[51:52], v[80:81], v[130:131], -v[51:52]
	v_fma_f64 v[27:28], v[120:121], v[178:179], -v[27:28]
	v_fma_f64 v[33:34], v[96:97], v[160:161], v[33:34]
	v_fma_f64 v[39:40], v[88:89], v[158:159], -v[39:40]
	v_fma_f64 v[41:42], v[80:81], v[128:129], v[41:42]
	v_add_f64 v[19:20], v[11:12], v[19:20]
	v_mul_f64 v[11:12], v[49:50], 0.5
	v_fma_f64 v[49:50], v[13:14], 0.5, v[53:54]
	v_fma_f64 v[53:54], v[17:18], -0.5, v[59:60]
	v_add_f64 v[23:24], v[6:7], v[23:24]
	v_fma_f64 v[61:62], v[17:18], s[8:9], v[15:16]
	v_add_f64 v[4:5], v[45:46], v[21:22]
	v_add_f64 v[63:64], v[29:30], v[37:38]
	v_add_f64 v[17:18], v[45:46], -v[21:22]
	v_add_f64 v[45:46], v[35:36], v[51:52]
	v_fma_f64 v[47:48], v[9:10], s[8:9], v[55:56]
	v_fma_f64 v[55:56], v[9:10], s[2:3], v[55:56]
	;; [unrolled: 1-line block ×3, first 2 shown]
	v_add_f64 v[9:10], v[57:58], v[49:50]
	v_add_f64 v[13:14], v[25:26], v[53:54]
	;; [unrolled: 1-line block ×3, first 2 shown]
	v_add_f64 v[21:22], v[57:58], -v[49:50]
	v_add_f64 v[49:50], v[0:1], v[29:30]
	v_add_f64 v[25:26], v[25:26], -v[53:54]
	v_fma_f64 v[0:1], v[63:64], -0.5, v[0:1]
	v_add_f64 v[53:54], v[43:44], -v[39:40]
	v_add_f64 v[57:58], v[33:34], v[41:42]
	v_add_f64 v[19:20], v[19:20], -v[23:24]
	v_fma_f64 v[23:24], v[45:46], -0.5, v[27:28]
	v_add_f64 v[45:46], v[33:34], -v[41:42]
	v_add_f64 v[63:64], v[2:3], v[43:44]
	v_add_f64 v[43:44], v[43:44], v[39:40]
	v_add_f64 v[80:81], v[35:36], -v[51:52]
	v_fma_f64 v[65:66], v[53:54], s[2:3], v[0:1]
	v_fma_f64 v[57:58], v[57:58], -0.5, v[31:32]
	v_fma_f64 v[53:54], v[53:54], s[8:9], v[0:1]
	v_add_f64 v[31:32], v[31:32], v[33:34]
	v_fma_f64 v[0:1], v[45:46], s[8:9], v[23:24]
	v_fma_f64 v[23:24], v[45:46], s[2:3], v[23:24]
	v_add_f64 v[27:28], v[27:28], v[35:36]
	v_fma_f64 v[2:3], v[43:44], -0.5, v[2:3]
	v_add_f64 v[29:30], v[29:30], -v[37:38]
	v_fma_f64 v[33:34], v[80:81], s[2:3], v[57:58]
	v_add_f64 v[49:50], v[49:50], v[37:38]
	v_fma_f64 v[37:38], v[80:81], s[8:9], v[57:58]
	v_mul_f64 v[43:44], v[0:1], s[2:3]
	v_mul_f64 v[0:1], v[0:1], 0.5
	v_mul_f64 v[45:46], v[23:24], s[2:3]
	v_mul_f64 v[23:24], v[23:24], -0.5
	v_add_f64 v[39:40], v[63:64], v[39:40]
	v_add_f64 v[41:42], v[31:32], v[41:42]
	;; [unrolled: 1-line block ×3, first 2 shown]
	v_fma_f64 v[57:58], v[29:30], s[8:9], v[2:3]
	v_fma_f64 v[43:44], v[33:34], 0.5, v[43:44]
	v_fma_f64 v[82:83], v[33:34], s[8:9], v[0:1]
	v_fma_f64 v[63:64], v[29:30], s[2:3], v[2:3]
	v_fma_f64 v[45:46], v[37:38], -0.5, v[45:46]
	v_fma_f64 v[90:91], v[37:38], s[8:9], v[23:24]
	v_add_f64 v[11:12], v[47:48], v[59:60]
	v_add_f64 v[15:16], v[55:56], v[61:62]
	v_add_f64 v[23:24], v[47:48], -v[59:60]
	v_add_f64 v[27:28], v[55:56], -v[61:62]
	v_add_f64 v[0:1], v[49:50], v[41:42]
	v_add_f64 v[2:3], v[39:40], v[51:52]
	;; [unrolled: 1-line block ×6, first 2 shown]
	v_add_f64 v[37:38], v[49:50], -v[41:42]
	v_add_f64 v[80:81], v[65:66], -v[43:44]
	;; [unrolled: 1-line block ×6, first 2 shown]
	ds_write_b128 v8, v[4:7]
	ds_write_b128 v8, v[9:12] offset:4624
	ds_write_b128 v8, v[13:16] offset:9248
	;; [unrolled: 1-line block ×11, first 2 shown]
	s_and_saveexec_b64 s[10:11], s[0:1]
	s_cbranch_execz .LBB0_9
; %bb.8:
	buffer_load_dword v21, off, s[64:67], 0 offset:4 ; 4-byte Folded Reload
	buffer_load_dword v22, off, s[64:67], 0 offset:8 ; 4-byte Folded Reload
	;; [unrolled: 1-line block ×4, first 2 shown]
	v_mul_f64 v[2:3], v[78:79], v[136:137]
	v_mul_f64 v[11:12], v[78:79], v[138:139]
	;; [unrolled: 1-line block ×8, first 2 shown]
	v_fma_f64 v[2:3], v[76:77], v[138:139], -v[2:3]
	v_fma_f64 v[11:12], v[76:77], v[136:137], v[11:12]
	v_fma_f64 v[15:16], v[68:69], v[150:151], -v[15:16]
	v_fma_f64 v[0:1], v[84:85], v[142:143], -v[0:1]
	;; [unrolled: 1-line block ×3, first 2 shown]
	v_fma_f64 v[9:10], v[84:85], v[140:141], v[9:10]
	v_fma_f64 v[17:18], v[72:73], v[132:133], v[17:18]
	;; [unrolled: 1-line block ×3, first 2 shown]
	v_add_f64 v[33:34], v[146:147], v[0:1]
	v_add_f64 v[29:30], v[9:10], -v[17:18]
	s_waitcnt vmcnt(2)
	v_mul_f64 v[4:5], v[126:127], v[21:22]
	s_waitcnt vmcnt(0)
	v_mul_f64 v[13:14], v[126:127], v[23:24]
	v_fma_f64 v[4:5], v[124:125], v[23:24], -v[4:5]
	v_fma_f64 v[13:14], v[124:125], v[21:22], v[13:14]
	v_add_f64 v[23:24], v[0:1], v[6:7]
	v_add_f64 v[0:1], v[0:1], -v[6:7]
	v_add_f64 v[21:22], v[2:3], v[4:5]
	v_add_f64 v[25:26], v[11:12], v[13:14]
	v_add_f64 v[27:28], v[11:12], -v[13:14]
	v_add_f64 v[31:32], v[2:3], -v[4:5]
	v_add_f64 v[2:3], v[15:16], v[2:3]
	v_add_f64 v[11:12], v[19:20], v[11:12]
	v_fma_f64 v[21:22], v[21:22], -0.5, v[15:16]
	v_add_f64 v[15:16], v[9:10], v[17:18]
	v_fma_f64 v[25:26], v[25:26], -0.5, v[19:20]
	v_fma_f64 v[19:20], v[23:24], -0.5, v[146:147]
	v_add_f64 v[9:10], v[144:145], v[9:10]
	v_add_f64 v[23:24], v[33:34], v[6:7]
	;; [unrolled: 1-line block ×4, first 2 shown]
	v_fma_f64 v[35:36], v[27:28], s[2:3], v[21:22]
	v_fma_f64 v[21:22], v[27:28], s[8:9], v[21:22]
	;; [unrolled: 1-line block ×4, first 2 shown]
	v_fma_f64 v[2:3], v[15:16], -0.5, v[144:145]
	v_fma_f64 v[15:16], v[29:30], s[2:3], v[19:20]
	v_fma_f64 v[19:20], v[29:30], s[8:9], v[19:20]
	v_add_f64 v[9:10], v[9:10], v[17:18]
	v_mul_f64 v[27:28], v[35:36], -0.5
	v_mul_f64 v[31:32], v[21:22], 0.5
	v_mul_f64 v[21:22], v[21:22], s[2:3]
	v_mul_f64 v[29:30], v[35:36], s[2:3]
	v_fma_f64 v[35:36], v[0:1], s[8:9], v[2:3]
	v_fma_f64 v[0:1], v[0:1], s[2:3], v[2:3]
	v_add_f64 v[11:12], v[23:24], -v[4:5]
	v_add_f64 v[23:24], v[23:24], v[4:5]
	v_fma_f64 v[27:28], v[6:7], s[8:9], v[27:28]
	v_fma_f64 v[31:32], v[25:26], s[8:9], v[31:32]
	v_fma_f64 v[25:26], v[25:26], 0.5, v[21:22]
	v_fma_f64 v[29:30], v[6:7], -0.5, v[29:30]
	v_add_f64 v[21:22], v[9:10], v[33:34]
	v_add_f64 v[9:10], v[9:10], -v[33:34]
	v_add_f64 v[2:3], v[15:16], -v[27:28]
	;; [unrolled: 1-line block ×3, first 2 shown]
	v_add_f64 v[19:20], v[19:20], v[31:32]
	v_add_f64 v[17:18], v[0:1], v[25:26]
	;; [unrolled: 1-line block ×4, first 2 shown]
	v_add_f64 v[4:5], v[0:1], -v[25:26]
	v_add_f64 v[0:1], v[35:36], -v[29:30]
	ds_write_b128 v8, v[21:24] offset:3264
	ds_write_b128 v8, v[17:20] offset:7888
	;; [unrolled: 1-line block ×6, first 2 shown]
.LBB0_9:
	s_or_b64 exec, exec, s[10:11]
	s_waitcnt vmcnt(0) lgkmcnt(0)
	s_barrier
	ds_read_b128 v[0:3], v8
	buffer_load_dword v4, off, s[64:67], 0 offset:20 ; 4-byte Folded Reload
	buffer_load_dword v5, off, s[64:67], 0 offset:24 ; 4-byte Folded Reload
	s_mul_i32 s2, s5, 0x660
	s_mul_hi_u32 s3, s4, 0x660
	s_add_i32 s2, s3, s2
	s_mul_i32 s3, s4, 0x660
	s_waitcnt vmcnt(1)
	v_mov_b32_e32 v15, v4
	s_waitcnt vmcnt(0)
	ds_read_b128 v[4:7], v8 offset:1632
	buffer_load_dword v19, off, s[64:67], 0 offset:60 ; 4-byte Folded Reload
	buffer_load_dword v20, off, s[64:67], 0 offset:64 ; 4-byte Folded Reload
	;; [unrolled: 1-line block ×4, first 2 shown]
	buffer_load_dword v18, off, s[64:67], 0 ; 4-byte Folded Reload
	v_mad_u64_u32 v[9:10], s[0:1], s6, v15, 0
	s_waitcnt vmcnt(1) lgkmcnt(1)
	v_mul_f64 v[11:12], v[21:22], v[2:3]
	v_mul_f64 v[13:14], v[21:22], v[0:1]
	v_fma_f64 v[0:1], v[19:20], v[0:1], v[11:12]
	v_fma_f64 v[2:3], v[19:20], v[2:3], -v[13:14]
	buffer_load_dword v20, off, s[64:67], 0 offset:44 ; 4-byte Folded Reload
	buffer_load_dword v21, off, s[64:67], 0 offset:48 ; 4-byte Folded Reload
	;; [unrolled: 1-line block ×4, first 2 shown]
	v_mad_u64_u32 v[15:16], s[0:1], s7, v15, v[10:11]
	s_waitcnt vmcnt(4)
	v_mad_u64_u32 v[16:17], s[0:1], s4, v18, 0
	v_mov_b32_e32 v10, v15
	v_lshlrev_b64 v[9:10], 4, v[9:10]
	v_mov_b32_e32 v11, v17
	v_mad_u64_u32 v[11:12], s[0:1], s5, v18, v[11:12]
	s_mov_b32 s0, 0x8b5e3104
	s_mov_b32 s1, 0x3f42e5b8
	v_mov_b32_e32 v17, v11
	v_mul_f64 v[0:1], v[0:1], s[0:1]
	v_mul_f64 v[2:3], v[2:3], s[0:1]
	v_mov_b32_e32 v15, s17
	v_add_co_u32_e32 v18, vcc, s16, v9
	v_addc_co_u32_e32 v19, vcc, v15, v10, vcc
	v_lshlrev_b64 v[9:10], 4, v[16:17]
	v_add_co_u32_e32 v15, vcc, v18, v9
	v_addc_co_u32_e32 v16, vcc, v19, v10, vcc
	global_store_dwordx4 v[15:16], v[0:3], off
	v_add_co_u32_e32 v15, vcc, s3, v15
	s_waitcnt vmcnt(1) lgkmcnt(0)
	v_mul_f64 v[11:12], v[22:23], v[6:7]
	v_mul_f64 v[13:14], v[22:23], v[4:5]
	v_fma_f64 v[11:12], v[20:21], v[4:5], v[11:12]
	v_fma_f64 v[13:14], v[20:21], v[6:7], -v[13:14]
	ds_read_b128 v[4:7], v8 offset:3264
	v_mov_b32_e32 v21, s2
	v_addc_co_u32_e32 v16, vcc, v16, v21, vcc
	v_mul_f64 v[0:1], v[11:12], s[0:1]
	ds_read_b128 v[9:12], v8 offset:4896
	buffer_load_dword v22, off, s[64:67], 0 offset:28 ; 4-byte Folded Reload
	buffer_load_dword v23, off, s[64:67], 0 offset:32 ; 4-byte Folded Reload
	;; [unrolled: 1-line block ×4, first 2 shown]
	v_mul_f64 v[2:3], v[13:14], s[0:1]
	s_waitcnt vmcnt(0) lgkmcnt(1)
	v_mul_f64 v[17:18], v[24:25], v[6:7]
	v_mul_f64 v[19:20], v[24:25], v[4:5]
	buffer_load_dword v24, off, s[64:67], 0 offset:108 ; 4-byte Folded Reload
	buffer_load_dword v25, off, s[64:67], 0 offset:112 ; 4-byte Folded Reload
	;; [unrolled: 1-line block ×4, first 2 shown]
	v_fma_f64 v[4:5], v[22:23], v[4:5], v[17:18]
	v_fma_f64 v[6:7], v[22:23], v[6:7], -v[19:20]
	global_store_dwordx4 v[15:16], v[0:3], off
	v_mov_b32_e32 v23, s2
	v_add_co_u32_e32 v15, vcc, s3, v15
	v_addc_co_u32_e32 v16, vcc, v16, v23, vcc
	v_mul_f64 v[0:1], v[4:5], s[0:1]
	v_mul_f64 v[2:3], v[6:7], s[0:1]
	ds_read_b128 v[4:7], v8 offset:6528
	s_waitcnt vmcnt(1) lgkmcnt(1)
	v_mul_f64 v[13:14], v[26:27], v[11:12]
	v_mul_f64 v[17:18], v[26:27], v[9:10]
	v_fma_f64 v[13:14], v[24:25], v[9:10], v[13:14]
	v_fma_f64 v[17:18], v[24:25], v[11:12], -v[17:18]
	ds_read_b128 v[9:12], v8 offset:8160
	buffer_load_dword v24, off, s[64:67], 0 offset:92 ; 4-byte Folded Reload
	buffer_load_dword v25, off, s[64:67], 0 offset:96 ; 4-byte Folded Reload
	;; [unrolled: 1-line block ×4, first 2 shown]
	s_waitcnt vmcnt(0) lgkmcnt(1)
	v_mul_f64 v[19:20], v[26:27], v[6:7]
	v_mul_f64 v[21:22], v[26:27], v[4:5]
	global_store_dwordx4 v[15:16], v[0:3], off
	v_add_co_u32_e32 v15, vcc, s3, v15
	v_mul_f64 v[0:1], v[13:14], s[0:1]
	v_mul_f64 v[2:3], v[17:18], s[0:1]
	v_addc_co_u32_e32 v16, vcc, v16, v23, vcc
	v_fma_f64 v[4:5], v[24:25], v[4:5], v[19:20]
	v_fma_f64 v[6:7], v[24:25], v[6:7], -v[21:22]
	buffer_load_dword v19, off, s[64:67], 0 offset:76 ; 4-byte Folded Reload
	buffer_load_dword v20, off, s[64:67], 0 offset:80 ; 4-byte Folded Reload
	buffer_load_dword v21, off, s[64:67], 0 offset:84 ; 4-byte Folded Reload
	buffer_load_dword v22, off, s[64:67], 0 offset:88 ; 4-byte Folded Reload
	s_waitcnt vmcnt(0) lgkmcnt(0)
	v_mul_f64 v[13:14], v[21:22], v[11:12]
	v_mul_f64 v[17:18], v[21:22], v[9:10]
	global_store_dwordx4 v[15:16], v[0:3], off
	v_add_co_u32_e32 v15, vcc, s3, v15
	v_mul_f64 v[0:1], v[4:5], s[0:1]
	v_mul_f64 v[2:3], v[6:7], s[0:1]
	ds_read_b128 v[4:7], v8 offset:9792
	v_fma_f64 v[13:14], v[19:20], v[9:10], v[13:14]
	v_fma_f64 v[17:18], v[19:20], v[11:12], -v[17:18]
	ds_read_b128 v[9:12], v8 offset:11424
	buffer_load_dword v24, off, s[64:67], 0 offset:124 ; 4-byte Folded Reload
	buffer_load_dword v25, off, s[64:67], 0 offset:128 ; 4-byte Folded Reload
	buffer_load_dword v26, off, s[64:67], 0 offset:132 ; 4-byte Folded Reload
	buffer_load_dword v27, off, s[64:67], 0 offset:136 ; 4-byte Folded Reload
	v_addc_co_u32_e32 v16, vcc, v16, v23, vcc
	global_store_dwordx4 v[15:16], v[0:3], off
	v_add_co_u32_e32 v15, vcc, s3, v15
	v_mul_f64 v[0:1], v[13:14], s[0:1]
	v_mul_f64 v[2:3], v[17:18], s[0:1]
	v_addc_co_u32_e32 v16, vcc, v16, v23, vcc
	s_waitcnt vmcnt(1) lgkmcnt(1)
	v_mul_f64 v[19:20], v[26:27], v[6:7]
	v_mul_f64 v[21:22], v[26:27], v[4:5]
	v_fma_f64 v[4:5], v[24:25], v[4:5], v[19:20]
	v_fma_f64 v[6:7], v[24:25], v[6:7], -v[21:22]
	buffer_load_dword v19, off, s[64:67], 0 offset:140 ; 4-byte Folded Reload
	buffer_load_dword v20, off, s[64:67], 0 offset:144 ; 4-byte Folded Reload
	buffer_load_dword v21, off, s[64:67], 0 offset:148 ; 4-byte Folded Reload
	buffer_load_dword v22, off, s[64:67], 0 offset:152 ; 4-byte Folded Reload
	s_waitcnt vmcnt(0) lgkmcnt(0)
	v_mul_f64 v[13:14], v[21:22], v[11:12]
	v_mul_f64 v[17:18], v[21:22], v[9:10]
	global_store_dwordx4 v[15:16], v[0:3], off
	v_add_co_u32_e32 v15, vcc, s3, v15
	v_mul_f64 v[0:1], v[4:5], s[0:1]
	v_mul_f64 v[2:3], v[6:7], s[0:1]
	ds_read_b128 v[4:7], v8 offset:13056
	v_fma_f64 v[13:14], v[19:20], v[9:10], v[13:14]
	v_fma_f64 v[17:18], v[19:20], v[11:12], -v[17:18]
	ds_read_b128 v[9:12], v8 offset:14688
	buffer_load_dword v24, off, s[64:67], 0 offset:156 ; 4-byte Folded Reload
	buffer_load_dword v25, off, s[64:67], 0 offset:160 ; 4-byte Folded Reload
	buffer_load_dword v26, off, s[64:67], 0 offset:164 ; 4-byte Folded Reload
	buffer_load_dword v27, off, s[64:67], 0 offset:168 ; 4-byte Folded Reload
	v_addc_co_u32_e32 v16, vcc, v16, v23, vcc
	global_store_dwordx4 v[15:16], v[0:3], off
	v_add_co_u32_e32 v15, vcc, s3, v15
	v_mul_f64 v[0:1], v[13:14], s[0:1]
	v_mul_f64 v[2:3], v[17:18], s[0:1]
	v_addc_co_u32_e32 v16, vcc, v16, v23, vcc
	s_waitcnt vmcnt(1) lgkmcnt(1)
	v_mul_f64 v[19:20], v[26:27], v[6:7]
	v_mul_f64 v[21:22], v[26:27], v[4:5]
	;; [unrolled: 30-line block ×5, first 2 shown]
	v_fma_f64 v[13:14], v[24:25], v[4:5], v[19:20]
	v_fma_f64 v[17:18], v[24:25], v[6:7], -v[21:22]
	ds_read_b128 v[4:7], v8 offset:26112
	buffer_load_dword v27, off, s[64:67], 0 offset:252 ; 4-byte Folded Reload
	buffer_load_dword v28, off, s[64:67], 0 offset:256 ; 4-byte Folded Reload
	buffer_load_dword v29, off, s[64:67], 0 offset:260 ; 4-byte Folded Reload
	buffer_load_dword v30, off, s[64:67], 0 offset:264 ; 4-byte Folded Reload
	s_waitcnt vmcnt(0) lgkmcnt(1)
	v_mul_f64 v[19:20], v[29:30], v[11:12]
	v_mul_f64 v[21:22], v[29:30], v[9:10]
	buffer_load_dword v29, off, s[64:67], 0 offset:284 ; 4-byte Folded Reload
	buffer_load_dword v30, off, s[64:67], 0 offset:288 ; 4-byte Folded Reload
	;; [unrolled: 1-line block ×4, first 2 shown]
	v_fma_f64 v[8:9], v[27:28], v[9:10], v[19:20]
	global_store_dwordx4 v[15:16], v[0:3], off
	v_fma_f64 v[10:11], v[27:28], v[11:12], -v[21:22]
	v_mul_f64 v[0:1], v[13:14], s[0:1]
	v_mul_f64 v[2:3], v[17:18], s[0:1]
	v_mov_b32_e32 v13, s2
	v_add_co_u32_e32 v12, vcc, s3, v15
	v_addc_co_u32_e32 v13, vcc, v16, v13, vcc
	global_store_dwordx4 v[12:13], v[0:3], off
	s_nop 0
	v_mul_f64 v[0:1], v[8:9], s[0:1]
	v_mul_f64 v[2:3], v[10:11], s[0:1]
	v_mov_b32_e32 v9, s2
	v_add_co_u32_e32 v8, vcc, s3, v12
	v_addc_co_u32_e32 v9, vcc, v13, v9, vcc
	global_store_dwordx4 v[8:9], v[0:3], off
	s_nop 0
	v_mov_b32_e32 v1, s2
	v_add_co_u32_e32 v0, vcc, s3, v8
	v_addc_co_u32_e32 v1, vcc, v9, v1, vcc
	s_waitcnt vmcnt(3) lgkmcnt(0)
	v_mul_f64 v[23:24], v[31:32], v[6:7]
	v_mul_f64 v[25:26], v[31:32], v[4:5]
	v_fma_f64 v[4:5], v[29:30], v[4:5], v[23:24]
	v_fma_f64 v[6:7], v[29:30], v[6:7], -v[25:26]
	v_mul_f64 v[4:5], v[4:5], s[0:1]
	v_mul_f64 v[6:7], v[6:7], s[0:1]
	global_store_dwordx4 v[0:1], v[4:7], off
.LBB0_10:
	s_endpgm
	.section	.rodata,"a",@progbits
	.p2align	6, 0x0
	.amdhsa_kernel bluestein_single_fwd_len1734_dim1_dp_op_CI_CI
		.amdhsa_group_segment_fixed_size 27744
		.amdhsa_private_segment_fixed_size 320
		.amdhsa_kernarg_size 104
		.amdhsa_user_sgpr_count 6
		.amdhsa_user_sgpr_private_segment_buffer 1
		.amdhsa_user_sgpr_dispatch_ptr 0
		.amdhsa_user_sgpr_queue_ptr 0
		.amdhsa_user_sgpr_kernarg_segment_ptr 1
		.amdhsa_user_sgpr_dispatch_id 0
		.amdhsa_user_sgpr_flat_scratch_init 0
		.amdhsa_user_sgpr_private_segment_size 0
		.amdhsa_uses_dynamic_stack 0
		.amdhsa_system_sgpr_private_segment_wavefront_offset 1
		.amdhsa_system_sgpr_workgroup_id_x 1
		.amdhsa_system_sgpr_workgroup_id_y 0
		.amdhsa_system_sgpr_workgroup_id_z 0
		.amdhsa_system_sgpr_workgroup_info 0
		.amdhsa_system_vgpr_workitem_id 0
		.amdhsa_next_free_vgpr 256
		.amdhsa_next_free_sgpr 68
		.amdhsa_reserve_vcc 1
		.amdhsa_reserve_flat_scratch 0
		.amdhsa_float_round_mode_32 0
		.amdhsa_float_round_mode_16_64 0
		.amdhsa_float_denorm_mode_32 3
		.amdhsa_float_denorm_mode_16_64 3
		.amdhsa_dx10_clamp 1
		.amdhsa_ieee_mode 1
		.amdhsa_fp16_overflow 0
		.amdhsa_exception_fp_ieee_invalid_op 0
		.amdhsa_exception_fp_denorm_src 0
		.amdhsa_exception_fp_ieee_div_zero 0
		.amdhsa_exception_fp_ieee_overflow 0
		.amdhsa_exception_fp_ieee_underflow 0
		.amdhsa_exception_fp_ieee_inexact 0
		.amdhsa_exception_int_div_zero 0
	.end_amdhsa_kernel
	.text
.Lfunc_end0:
	.size	bluestein_single_fwd_len1734_dim1_dp_op_CI_CI, .Lfunc_end0-bluestein_single_fwd_len1734_dim1_dp_op_CI_CI
                                        ; -- End function
	.section	.AMDGPU.csdata,"",@progbits
; Kernel info:
; codeLenInByte = 35884
; NumSgprs: 72
; NumVgprs: 256
; ScratchSize: 320
; MemoryBound: 0
; FloatMode: 240
; IeeeMode: 1
; LDSByteSize: 27744 bytes/workgroup (compile time only)
; SGPRBlocks: 8
; VGPRBlocks: 63
; NumSGPRsForWavesPerEU: 72
; NumVGPRsForWavesPerEU: 256
; Occupancy: 1
; WaveLimiterHint : 1
; COMPUTE_PGM_RSRC2:SCRATCH_EN: 1
; COMPUTE_PGM_RSRC2:USER_SGPR: 6
; COMPUTE_PGM_RSRC2:TRAP_HANDLER: 0
; COMPUTE_PGM_RSRC2:TGID_X_EN: 1
; COMPUTE_PGM_RSRC2:TGID_Y_EN: 0
; COMPUTE_PGM_RSRC2:TGID_Z_EN: 0
; COMPUTE_PGM_RSRC2:TIDIG_COMP_CNT: 0
	.type	__hip_cuid_b7eb3fb7c96b8152,@object ; @__hip_cuid_b7eb3fb7c96b8152
	.section	.bss,"aw",@nobits
	.globl	__hip_cuid_b7eb3fb7c96b8152
__hip_cuid_b7eb3fb7c96b8152:
	.byte	0                               ; 0x0
	.size	__hip_cuid_b7eb3fb7c96b8152, 1

	.ident	"AMD clang version 19.0.0git (https://github.com/RadeonOpenCompute/llvm-project roc-6.4.0 25133 c7fe45cf4b819c5991fe208aaa96edf142730f1d)"
	.section	".note.GNU-stack","",@progbits
	.addrsig
	.addrsig_sym __hip_cuid_b7eb3fb7c96b8152
	.amdgpu_metadata
---
amdhsa.kernels:
  - .args:
      - .actual_access:  read_only
        .address_space:  global
        .offset:         0
        .size:           8
        .value_kind:     global_buffer
      - .actual_access:  read_only
        .address_space:  global
        .offset:         8
        .size:           8
        .value_kind:     global_buffer
      - .actual_access:  read_only
        .address_space:  global
        .offset:         16
        .size:           8
        .value_kind:     global_buffer
      - .actual_access:  read_only
        .address_space:  global
        .offset:         24
        .size:           8
        .value_kind:     global_buffer
      - .actual_access:  read_only
        .address_space:  global
        .offset:         32
        .size:           8
        .value_kind:     global_buffer
      - .offset:         40
        .size:           8
        .value_kind:     by_value
      - .address_space:  global
        .offset:         48
        .size:           8
        .value_kind:     global_buffer
      - .address_space:  global
        .offset:         56
        .size:           8
        .value_kind:     global_buffer
      - .address_space:  global
        .offset:         64
        .size:           8
        .value_kind:     global_buffer
      - .address_space:  global
        .offset:         72
        .size:           8
        .value_kind:     global_buffer
      - .offset:         80
        .size:           4
        .value_kind:     by_value
      - .address_space:  global
        .offset:         88
        .size:           8
        .value_kind:     global_buffer
      - .address_space:  global
        .offset:         96
        .size:           8
        .value_kind:     global_buffer
    .group_segment_fixed_size: 27744
    .kernarg_segment_align: 8
    .kernarg_segment_size: 104
    .language:       OpenCL C
    .language_version:
      - 2
      - 0
    .max_flat_workgroup_size: 102
    .name:           bluestein_single_fwd_len1734_dim1_dp_op_CI_CI
    .private_segment_fixed_size: 320
    .sgpr_count:     72
    .sgpr_spill_count: 0
    .symbol:         bluestein_single_fwd_len1734_dim1_dp_op_CI_CI.kd
    .uniform_work_group_size: 1
    .uses_dynamic_stack: false
    .vgpr_count:     256
    .vgpr_spill_count: 83
    .wavefront_size: 64
amdhsa.target:   amdgcn-amd-amdhsa--gfx906
amdhsa.version:
  - 1
  - 2
...

	.end_amdgpu_metadata
